;; amdgpu-corpus repo=ROCm/rocFFT kind=compiled arch=gfx950 opt=O3
	.text
	.amdgcn_target "amdgcn-amd-amdhsa--gfx950"
	.amdhsa_code_object_version 6
	.protected	fft_rtc_fwd_len2304_factors_6_6_4_4_4_wgs_192_tpt_192_halfLds_sp_op_CI_CI_unitstride_sbrr_R2C_dirReg ; -- Begin function fft_rtc_fwd_len2304_factors_6_6_4_4_4_wgs_192_tpt_192_halfLds_sp_op_CI_CI_unitstride_sbrr_R2C_dirReg
	.globl	fft_rtc_fwd_len2304_factors_6_6_4_4_4_wgs_192_tpt_192_halfLds_sp_op_CI_CI_unitstride_sbrr_R2C_dirReg
	.p2align	8
	.type	fft_rtc_fwd_len2304_factors_6_6_4_4_4_wgs_192_tpt_192_halfLds_sp_op_CI_CI_unitstride_sbrr_R2C_dirReg,@function
fft_rtc_fwd_len2304_factors_6_6_4_4_4_wgs_192_tpt_192_halfLds_sp_op_CI_CI_unitstride_sbrr_R2C_dirReg: ; @fft_rtc_fwd_len2304_factors_6_6_4_4_4_wgs_192_tpt_192_halfLds_sp_op_CI_CI_unitstride_sbrr_R2C_dirReg
; %bb.0:
	s_load_dwordx4 s[4:7], s[0:1], 0x58
	s_load_dwordx4 s[8:11], s[0:1], 0x0
	;; [unrolled: 1-line block ×3, first 2 shown]
	v_mul_u32_u24_e32 v1, 0x156, v0
	v_add_u32_sdwa v8, s2, v1 dst_sel:DWORD dst_unused:UNUSED_PAD src0_sel:DWORD src1_sel:WORD_1
	v_mov_b32_e32 v6, 0
	s_waitcnt lgkmcnt(0)
	v_cmp_lt_u64_e64 s[2:3], s[10:11], 2
	v_mov_b32_e32 v9, v6
	s_and_b64 vcc, exec, s[2:3]
	v_mov_b64_e32 v[12:13], 0
	s_cbranch_vccnz .LBB0_8
; %bb.1:
	s_load_dwordx2 s[2:3], s[0:1], 0x10
	s_add_u32 s16, s14, 8
	s_addc_u32 s17, s15, 0
	s_add_u32 s18, s12, 8
	s_addc_u32 s19, s13, 0
	s_waitcnt lgkmcnt(0)
	s_add_u32 s20, s2, 8
	v_mov_b64_e32 v[12:13], 0
	s_addc_u32 s21, s3, 0
	s_mov_b64 s[22:23], 1
	v_mov_b64_e32 v[2:3], v[12:13]
.LBB0_2:                                ; =>This Inner Loop Header: Depth=1
	s_load_dwordx2 s[24:25], s[20:21], 0x0
                                        ; implicit-def: $vgpr4_vgpr5
	s_waitcnt lgkmcnt(0)
	v_or_b32_e32 v7, s25, v9
	v_cmp_ne_u64_e32 vcc, 0, v[6:7]
	s_and_saveexec_b64 s[2:3], vcc
	s_xor_b64 s[26:27], exec, s[2:3]
	s_cbranch_execz .LBB0_4
; %bb.3:                                ;   in Loop: Header=BB0_2 Depth=1
	v_cvt_f32_u32_e32 v1, s24
	v_cvt_f32_u32_e32 v4, s25
	s_sub_u32 s2, 0, s24
	s_subb_u32 s3, 0, s25
	v_fmac_f32_e32 v1, 0x4f800000, v4
	v_rcp_f32_e32 v1, v1
	s_nop 0
	v_mul_f32_e32 v1, 0x5f7ffffc, v1
	v_mul_f32_e32 v4, 0x2f800000, v1
	v_trunc_f32_e32 v4, v4
	v_fmac_f32_e32 v1, 0xcf800000, v4
	v_cvt_u32_f32_e32 v7, v4
	v_cvt_u32_f32_e32 v1, v1
	v_mul_lo_u32 v4, s2, v7
	v_mul_hi_u32 v10, s2, v1
	v_mul_lo_u32 v5, s3, v1
	v_add_u32_e32 v10, v10, v4
	v_mul_lo_u32 v14, s2, v1
	v_add_u32_e32 v15, v10, v5
	v_mul_hi_u32 v4, v1, v14
	v_mul_hi_u32 v11, v1, v15
	v_mul_lo_u32 v10, v1, v15
	v_mov_b32_e32 v5, v6
	v_lshl_add_u64 v[4:5], v[4:5], 0, v[10:11]
	v_mul_hi_u32 v11, v7, v14
	v_mul_lo_u32 v14, v7, v14
	v_add_co_u32_e32 v4, vcc, v4, v14
	v_mul_hi_u32 v10, v7, v15
	s_nop 0
	v_addc_co_u32_e32 v4, vcc, v5, v11, vcc
	v_mov_b32_e32 v5, v6
	s_nop 0
	v_addc_co_u32_e32 v11, vcc, 0, v10, vcc
	v_mul_lo_u32 v10, v7, v15
	v_lshl_add_u64 v[4:5], v[4:5], 0, v[10:11]
	v_add_co_u32_e32 v1, vcc, v1, v4
	v_mul_lo_u32 v10, s2, v1
	s_nop 0
	v_addc_co_u32_e32 v7, vcc, v7, v5, vcc
	v_mul_lo_u32 v4, s2, v7
	v_mul_hi_u32 v5, s2, v1
	v_add_u32_e32 v4, v5, v4
	v_mul_lo_u32 v5, s3, v1
	v_add_u32_e32 v14, v4, v5
	v_mul_hi_u32 v16, v7, v10
	v_mul_lo_u32 v17, v7, v10
	v_mul_hi_u32 v5, v1, v14
	v_mul_lo_u32 v4, v1, v14
	v_mul_hi_u32 v10, v1, v10
	v_mov_b32_e32 v11, v6
	v_lshl_add_u64 v[4:5], v[10:11], 0, v[4:5]
	v_add_co_u32_e32 v4, vcc, v4, v17
	v_mul_hi_u32 v15, v7, v14
	s_nop 0
	v_addc_co_u32_e32 v4, vcc, v5, v16, vcc
	v_mul_lo_u32 v10, v7, v14
	s_nop 0
	v_addc_co_u32_e32 v11, vcc, 0, v15, vcc
	v_mov_b32_e32 v5, v6
	v_lshl_add_u64 v[4:5], v[4:5], 0, v[10:11]
	v_add_co_u32_e32 v1, vcc, v1, v4
	v_mul_hi_u32 v10, v8, v1
	s_nop 0
	v_addc_co_u32_e32 v7, vcc, v7, v5, vcc
	v_mad_u64_u32 v[4:5], s[2:3], v8, v7, 0
	v_mov_b32_e32 v11, v6
	v_lshl_add_u64 v[4:5], v[10:11], 0, v[4:5]
	v_mad_u64_u32 v[14:15], s[2:3], v9, v1, 0
	v_add_co_u32_e32 v1, vcc, v4, v14
	v_mad_u64_u32 v[10:11], s[2:3], v9, v7, 0
	s_nop 0
	v_addc_co_u32_e32 v4, vcc, v5, v15, vcc
	v_mov_b32_e32 v5, v6
	s_nop 0
	v_addc_co_u32_e32 v11, vcc, 0, v11, vcc
	v_lshl_add_u64 v[4:5], v[4:5], 0, v[10:11]
	v_mul_lo_u32 v1, s25, v4
	v_mul_lo_u32 v7, s24, v5
	v_mad_u64_u32 v[10:11], s[2:3], s24, v4, 0
	v_add3_u32 v1, v11, v7, v1
	v_sub_u32_e32 v7, v9, v1
	v_mov_b32_e32 v11, s25
	v_sub_co_u32_e32 v16, vcc, v8, v10
	v_lshl_add_u64 v[14:15], v[4:5], 0, 1
	s_nop 0
	v_subb_co_u32_e64 v7, s[2:3], v7, v11, vcc
	v_subrev_co_u32_e64 v10, s[2:3], s24, v16
	v_subb_co_u32_e32 v1, vcc, v9, v1, vcc
	s_nop 0
	v_subbrev_co_u32_e64 v7, s[2:3], 0, v7, s[2:3]
	v_cmp_le_u32_e64 s[2:3], s25, v7
	v_cmp_le_u32_e32 vcc, s25, v1
	s_nop 0
	v_cndmask_b32_e64 v11, 0, -1, s[2:3]
	v_cmp_le_u32_e64 s[2:3], s24, v10
	s_nop 1
	v_cndmask_b32_e64 v10, 0, -1, s[2:3]
	v_cmp_eq_u32_e64 s[2:3], s25, v7
	s_nop 1
	v_cndmask_b32_e64 v7, v11, v10, s[2:3]
	v_lshl_add_u64 v[10:11], v[4:5], 0, 2
	v_cmp_ne_u32_e64 s[2:3], 0, v7
	s_nop 1
	v_cndmask_b32_e64 v7, v15, v11, s[2:3]
	v_cndmask_b32_e64 v11, 0, -1, vcc
	v_cmp_le_u32_e32 vcc, s24, v16
	s_nop 1
	v_cndmask_b32_e64 v15, 0, -1, vcc
	v_cmp_eq_u32_e32 vcc, s25, v1
	s_nop 1
	v_cndmask_b32_e32 v1, v11, v15, vcc
	v_cmp_ne_u32_e32 vcc, 0, v1
	v_cndmask_b32_e64 v1, v14, v10, s[2:3]
	s_nop 0
	v_cndmask_b32_e32 v5, v5, v7, vcc
	v_cndmask_b32_e32 v4, v4, v1, vcc
.LBB0_4:                                ;   in Loop: Header=BB0_2 Depth=1
	s_andn2_saveexec_b64 s[2:3], s[26:27]
	s_cbranch_execz .LBB0_6
; %bb.5:                                ;   in Loop: Header=BB0_2 Depth=1
	v_cvt_f32_u32_e32 v1, s24
	s_sub_i32 s26, 0, s24
	v_rcp_iflag_f32_e32 v1, v1
	s_nop 0
	v_mul_f32_e32 v1, 0x4f7ffffe, v1
	v_cvt_u32_f32_e32 v1, v1
	v_mul_lo_u32 v4, s26, v1
	v_mul_hi_u32 v4, v1, v4
	v_add_u32_e32 v1, v1, v4
	v_mul_hi_u32 v1, v8, v1
	v_mul_lo_u32 v4, v1, s24
	v_sub_u32_e32 v4, v8, v4
	v_add_u32_e32 v5, 1, v1
	v_subrev_u32_e32 v7, s24, v4
	v_cmp_le_u32_e32 vcc, s24, v4
	s_nop 1
	v_cndmask_b32_e32 v4, v4, v7, vcc
	v_cndmask_b32_e32 v1, v1, v5, vcc
	v_add_u32_e32 v5, 1, v1
	v_cmp_le_u32_e32 vcc, s24, v4
	s_nop 1
	v_cndmask_b32_e32 v4, v1, v5, vcc
	v_mov_b32_e32 v5, v6
.LBB0_6:                                ;   in Loop: Header=BB0_2 Depth=1
	s_or_b64 exec, exec, s[2:3]
	v_mad_u64_u32 v[10:11], s[2:3], v4, s24, 0
	s_load_dwordx2 s[2:3], s[18:19], 0x0
	v_mul_lo_u32 v1, v5, s24
	v_mul_lo_u32 v7, v4, s25
	s_load_dwordx2 s[24:25], s[16:17], 0x0
	s_add_u32 s22, s22, 1
	v_add3_u32 v1, v11, v7, v1
	v_sub_co_u32_e32 v7, vcc, v8, v10
	s_addc_u32 s23, s23, 0
	s_nop 0
	v_subb_co_u32_e32 v1, vcc, v9, v1, vcc
	s_add_u32 s16, s16, 8
	s_waitcnt lgkmcnt(0)
	v_mul_lo_u32 v8, s2, v1
	v_mul_lo_u32 v9, s3, v7
	v_mad_u64_u32 v[12:13], s[2:3], s2, v7, v[12:13]
	s_addc_u32 s17, s17, 0
	v_add3_u32 v13, v9, v13, v8
	v_mul_lo_u32 v1, s24, v1
	v_mul_lo_u32 v8, s25, v7
	v_mad_u64_u32 v[2:3], s[2:3], s24, v7, v[2:3]
	s_add_u32 s18, s18, 8
	v_add3_u32 v3, v8, v3, v1
	s_addc_u32 s19, s19, 0
	v_mov_b64_e32 v[8:9], s[10:11]
	s_add_u32 s20, s20, 8
	v_cmp_ge_u64_e32 vcc, s[22:23], v[8:9]
	s_addc_u32 s21, s21, 0
	s_cbranch_vccnz .LBB0_9
; %bb.7:                                ;   in Loop: Header=BB0_2 Depth=1
	v_mov_b64_e32 v[8:9], v[4:5]
	s_branch .LBB0_2
.LBB0_8:
	v_mov_b64_e32 v[2:3], v[12:13]
	v_mov_b64_e32 v[4:5], v[8:9]
.LBB0_9:
	s_load_dwordx2 s[18:19], s[0:1], 0x28
	s_lshl_b64 s[16:17], s[10:11], 3
	s_add_u32 s2, s14, s16
	s_addc_u32 s3, s15, s17
                                        ; implicit-def: $vgpr10_vgpr11
                                        ; implicit-def: $vgpr6
                                        ; implicit-def: $vgpr8
	s_waitcnt lgkmcnt(0)
	v_cmp_gt_u64_e64 s[0:1], s[18:19], v[4:5]
	v_cmp_le_u64_e32 vcc, s[18:19], v[4:5]
	s_and_saveexec_b64 s[10:11], vcc
	s_xor_b64 s[10:11], exec, s[10:11]
; %bb.10:
	s_mov_b32 s14, 0x1555556
	v_mul_hi_u32 v1, v0, s14
	v_mul_u32_u24_e32 v1, 0xc0, v1
	v_sub_u32_e32 v6, v0, v1
	v_add_u32_e32 v11, 0xc0, v6
	v_add_u32_e32 v10, 0x180, v6
	v_mov_b32_e32 v8, v11
                                        ; implicit-def: $vgpr0
                                        ; implicit-def: $vgpr12_vgpr13
; %bb.11:
	s_andn2_saveexec_b64 s[10:11], s[10:11]
	s_cbranch_execz .LBB0_13
; %bb.12:
	s_add_u32 s12, s12, s16
	s_addc_u32 s13, s13, s17
	s_load_dwordx2 s[12:13], s[12:13], 0x0
	s_mov_b32 s14, 0x1555556
	s_waitcnt lgkmcnt(0)
	v_mul_lo_u32 v1, s13, v4
	v_mul_lo_u32 v6, s12, v5
	v_mad_u64_u32 v[8:9], s[12:13], s12, v4, 0
	v_add3_u32 v9, v9, v6, v1
	v_mul_hi_u32 v1, v0, s14
	v_mul_u32_u24_e32 v1, 0xc0, v1
	v_sub_u32_e32 v6, v0, v1
	v_lshl_add_u64 v[0:1], v[8:9], 3, s[4:5]
	v_lshl_add_u64 v[0:1], v[12:13], 3, v[0:1]
	v_lshlrev_b32_e32 v8, 3, v6
	v_mov_b32_e32 v9, 0
	v_lshl_add_u64 v[12:13], v[0:1], 0, v[8:9]
	v_add_u32_e32 v10, 0x180, v6
	s_movk_i32 s4, 0x1000
	v_add_u32_e32 v11, 0xc0, v6
	v_mov_b32_e32 v16, v10
	v_mov_b32_e32 v17, v9
	v_add_co_u32_e32 v18, vcc, s4, v12
	v_mov_b32_e32 v14, v11
	v_mov_b32_e32 v15, v9
	v_lshl_add_u64 v[16:17], v[16:17], 3, v[0:1]
	v_addc_co_u32_e32 v19, vcc, 0, v13, vcc
	s_movk_i32 s4, 0x2000
	v_lshl_add_u64 v[14:15], v[14:15], 3, v[0:1]
	global_load_dwordx2 v[20:21], v[12:13], off
	global_load_dwordx2 v[22:23], v[14:15], off
	;; [unrolled: 1-line block ×3, first 2 shown]
	global_load_dwordx2 v[26:27], v[18:19], off offset:512
	v_add_co_u32_e32 v16, vcc, s4, v12
	v_add_u32_e32 v7, 0, v8
	v_or_b32_e32 v14, 0x1800, v8
	v_mov_b32_e32 v15, v9
	v_addc_co_u32_e32 v17, vcc, 0, v13, vcc
	v_or_b32_e32 v8, 0x3000, v8
	v_lshl_add_u64 v[14:15], v[0:1], 0, v[14:15]
	v_lshl_add_u64 v[0:1], v[0:1], 0, v[8:9]
	v_add_co_u32_e32 v8, vcc, 0x3000, v12
	global_load_dwordx2 v[28:29], v[16:17], off offset:1024
	global_load_dwordx2 v[30:31], v[16:17], off offset:2560
	global_load_dwordx2 v[32:33], v[14:15], off
	global_load_dwordx2 v[34:35], v[18:19], off offset:3584
	v_addc_co_u32_e32 v9, vcc, 0, v13, vcc
	v_add_co_u32_e32 v12, vcc, 0x4000, v12
	s_nop 1
	v_addc_co_u32_e32 v13, vcc, 0, v13, vcc
	global_load_dwordx2 v[14:15], v[0:1], off
	global_load_dwordx2 v[16:17], v[8:9], off offset:1536
	global_load_dwordx2 v[18:19], v[8:9], off offset:3072
	;; [unrolled: 1-line block ×3, first 2 shown]
	v_mov_b32_e32 v8, v11
	v_lshl_add_u32 v0, v11, 3, 0
	v_lshl_add_u32 v1, v10, 3, 0
	s_waitcnt vmcnt(11)
	ds_write_b64 v7, v[20:21]
	s_waitcnt vmcnt(10)
	ds_write_b64 v0, v[22:23]
	;; [unrolled: 2-line block ×3, first 2 shown]
	s_waitcnt vmcnt(5)
	ds_write2st64_b64 v7, v[26:27], v[32:33] offset0:9 offset1:12
	s_waitcnt vmcnt(4)
	ds_write2st64_b64 v7, v[34:35], v[28:29] offset0:15 offset1:18
	s_waitcnt vmcnt(3)
	ds_write2st64_b64 v7, v[30:31], v[14:15] offset0:21 offset1:24
	s_waitcnt vmcnt(1)
	ds_write2st64_b64 v7, v[16:17], v[18:19] offset0:27 offset1:30
	s_waitcnt vmcnt(0)
	ds_write_b64 v7, v[36:37] offset:16896
.LBB0_13:
	s_or_b64 exec, exec, s[10:11]
	v_lshlrev_b32_e32 v7, 3, v6
	v_add_u32_e32 v18, 0, v7
	s_load_dwordx2 s[2:3], s[2:3], 0x0
	s_waitcnt lgkmcnt(0)
	s_barrier
	ds_read2st64_b64 v[12:15], v18 offset1:3
	ds_read2st64_b64 v[20:23], v18 offset0:6 offset1:9
	ds_read2st64_b64 v[24:27], v18 offset0:12 offset1:15
	;; [unrolled: 1-line block ×5, first 2 shown]
	s_mov_b32 s4, 0x3f5db3d7
	s_waitcnt lgkmcnt(3)
	v_pk_add_f32 v[42:43], v[12:13], v[24:25]
	s_waitcnt lgkmcnt(2)
	v_pk_add_f32 v[48:49], v[24:25], v[28:29]
	v_pk_add_f32 v[24:25], v[24:25], v[28:29] neg_lo:[0,1] neg_hi:[0,1]
	v_pk_fma_f32 v[12:13], v[48:49], 0.5, v[12:13] op_sel_hi:[1,0,1] neg_lo:[1,0,0] neg_hi:[1,0,0]
	s_mov_b32 s5, 0xbf5db3d7
	s_waitcnt lgkmcnt(0)
	v_pk_add_f32 v[48:49], v[32:33], v[36:37]
	v_pk_add_f32 v[44:45], v[20:21], v[32:33]
	v_pk_mul_f32 v[24:25], v[24:25], s[4:5] op_sel_hi:[1,0]
	v_pk_fma_f32 v[20:21], v[48:49], 0.5, v[20:21] op_sel_hi:[1,0,1] neg_lo:[1,0,0] neg_hi:[1,0,0]
	v_pk_add_f32 v[32:33], v[32:33], v[36:37] neg_lo:[0,1] neg_hi:[0,1]
	v_pk_add_f32 v[42:43], v[42:43], v[28:29]
	v_pk_add_f32 v[44:45], v[44:45], v[36:37]
	v_pk_add_f32 v[28:29], v[12:13], v[24:25] op_sel:[0,1] op_sel_hi:[1,0]
	v_pk_add_f32 v[12:13], v[12:13], v[24:25] op_sel:[0,1] op_sel_hi:[1,0] neg_lo:[0,1] neg_hi:[0,1]
	v_pk_fma_f32 v[36:37], v[32:33], s[4:5], v[20:21] op_sel:[0,0,1] op_sel_hi:[1,0,0]
	s_mov_b32 s10, 0.5
	s_mov_b32 s11, s4
	v_mov_b32_e32 v24, v28
	v_mov_b32_e32 v25, v13
	v_pk_fma_f32 v[20:21], v[32:33], s[4:5], v[20:21] op_sel:[0,0,1] op_sel_hi:[1,0,0] neg_lo:[1,0,0] neg_hi:[1,0,0]
	v_mov_b32_e32 v13, v29
	v_pk_mul_f32 v[28:29], v[36:37], s[10:11] op_sel:[1,0]
	s_mov_b32 s12, s4
	s_mov_b32 s13, s10
	v_mov_b32_e32 v32, v36
	v_mov_b32_e32 v33, v21
	v_pk_fma_f32 v[36:37], v[20:21], s[12:13], v[28:29]
	v_pk_fma_f32 v[20:21], v[20:21], s[12:13], v[28:29] op_sel_hi:[0,1,1] neg_lo:[0,0,1] neg_hi:[0,0,1]
	v_pk_mul_f32 v[48:49], v[32:33], 0.5 op_sel_hi:[1,0]
	v_mov_b32_e32 v37, v21
	v_mad_u32_u24 v9, v6, 40, v18
	v_pk_add_f32 v[46:47], v[42:43], v[44:45]
	v_pk_fma_f32 v[32:33], v[32:33], s[4:5], v[48:49] op_sel:[0,0,1] op_sel_hi:[1,1,0] neg_lo:[0,0,1] neg_hi:[0,0,1]
	v_pk_add_f32 v[20:21], v[24:25], v[36:37]
	s_barrier
	v_pk_add_f32 v[28:29], v[12:13], v[32:33]
	ds_write2_b64 v9, v[46:47], v[20:21] offset1:1
	v_pk_add_f32 v[20:21], v[42:43], v[44:45] neg_lo:[0,1] neg_hi:[0,1]
	ds_write2_b64 v9, v[28:29], v[20:21] offset0:2 offset1:3
	v_pk_add_f32 v[20:21], v[24:25], v[36:37] neg_lo:[0,1] neg_hi:[0,1]
	v_pk_add_f32 v[12:13], v[12:13], v[32:33] neg_lo:[0,1] neg_hi:[0,1]
	v_mul_i32_i24_e32 v0, 6, v8
	ds_write2_b64 v9, v[20:21], v[12:13] offset0:4 offset1:5
	v_pk_add_f32 v[12:13], v[26:27], v[30:31]
	v_pk_add_f32 v[24:25], v[34:35], v[38:39]
	v_lshl_add_u32 v19, v0, 3, 0
	v_pk_add_f32 v[0:1], v[14:15], v[26:27]
	v_pk_add_f32 v[16:17], v[22:23], v[34:35]
	v_pk_fma_f32 v[12:13], v[12:13], 0.5, v[14:15] op_sel_hi:[1,0,1] neg_lo:[1,0,0] neg_hi:[1,0,0]
	v_pk_add_f32 v[14:15], v[26:27], v[30:31] neg_lo:[0,1] neg_hi:[0,1]
	v_pk_fma_f32 v[22:23], v[24:25], 0.5, v[22:23] op_sel_hi:[1,0,1] neg_lo:[1,0,0] neg_hi:[1,0,0]
	v_pk_add_f32 v[24:25], v[34:35], v[38:39] neg_lo:[0,1] neg_hi:[0,1]
	v_pk_mul_f32 v[14:15], v[14:15], s[4:5] op_sel_hi:[1,0]
	v_pk_fma_f32 v[26:27], v[24:25], s[4:5], v[22:23] op_sel:[0,0,1] op_sel_hi:[1,0,0]
	v_pk_fma_f32 v[22:23], v[24:25], s[4:5], v[22:23] op_sel:[0,0,1] op_sel_hi:[1,0,0] neg_lo:[1,0,0] neg_hi:[1,0,0]
	v_pk_add_f32 v[20:21], v[12:13], v[14:15] op_sel:[0,1] op_sel_hi:[1,0]
	v_pk_add_f32 v[12:13], v[12:13], v[14:15] op_sel:[0,1] op_sel_hi:[1,0] neg_lo:[0,1] neg_hi:[0,1]
	v_mov_b32_e32 v24, v26
	v_mov_b32_e32 v25, v23
	;; [unrolled: 1-line block ×4, first 2 shown]
	v_pk_mul_f32 v[28:29], v[24:25], 0.5 op_sel_hi:[1,0]
	v_mov_b32_e32 v13, v21
	v_pk_mul_f32 v[20:21], v[26:27], s[10:11] op_sel:[1,0]
	v_pk_add_f32 v[0:1], v[0:1], v[30:31]
	v_pk_add_f32 v[16:17], v[16:17], v[38:39]
	v_pk_fma_f32 v[24:25], v[24:25], s[4:5], v[28:29] op_sel:[0,0,1] op_sel_hi:[1,1,0] neg_lo:[0,0,1] neg_hi:[0,0,1]
	v_pk_fma_f32 v[26:27], v[22:23], s[12:13], v[20:21]
	v_pk_fma_f32 v[20:21], v[22:23], s[12:13], v[20:21] op_sel_hi:[0,1,1] neg_lo:[0,0,1] neg_hi:[0,0,1]
	v_pk_add_f32 v[40:41], v[0:1], v[16:17]
	v_mov_b32_e32 v27, v21
	v_pk_add_f32 v[22:23], v[12:13], v[24:25]
	v_pk_add_f32 v[0:1], v[0:1], v[16:17] neg_lo:[0,1] neg_hi:[0,1]
	ds_write2_b64 v19, v[22:23], v[0:1] offset0:2 offset1:3
	v_pk_add_f32 v[0:1], v[14:15], v[26:27] neg_lo:[0,1] neg_hi:[0,1]
	v_pk_add_f32 v[12:13], v[12:13], v[24:25] neg_lo:[0,1] neg_hi:[0,1]
	s_mov_b32 s10, 0xaaab
	v_pk_add_f32 v[20:21], v[14:15], v[26:27]
	ds_write2_b64 v19, v[0:1], v[12:13] offset0:4 offset1:5
	v_mul_u32_u24_sdwa v0, v11, s10 dst_sel:DWORD dst_unused:UNUSED_PAD src0_sel:WORD_0 src1_sel:DWORD
	ds_write2_b64 v19, v[40:41], v[20:21] offset1:1
	v_lshrrev_b32_e32 v21, 18, v0
	v_mul_lo_u16_e32 v0, 6, v21
	v_sub_u16_e32 v50, v11, v0
	v_mul_u32_u24_e32 v0, 5, v50
	v_lshlrev_b32_e32 v9, 3, v0
	s_waitcnt lgkmcnt(0)
	s_barrier
	global_load_dwordx4 v[12:15], v9, s[8:9]
	s_movk_i32 s10, 0xab
	v_mul_lo_u16_sdwa v0, v6, s10 dst_sel:DWORD dst_unused:UNUSED_PAD src0_sel:BYTE_0 src1_sel:DWORD
	v_lshrrev_b16_e32 v46, 10, v0
	v_mul_lo_u16_e32 v0, 6, v46
	v_sub_u16_e32 v47, v6, v0
	v_mov_b32_e32 v0, 5
	v_mul_u32_u24_sdwa v0, v47, v0 dst_sel:DWORD dst_unused:UNUSED_PAD src0_sel:BYTE_0 src1_sel:DWORD
	v_lshlrev_b32_e32 v20, 3, v0
	global_load_dwordx4 v[22:25], v9, s[8:9] offset:16
	global_load_dwordx4 v[26:29], v20, s[8:9]
	global_load_dwordx2 v[0:1], v9, s[8:9] offset:32
	global_load_dwordx4 v[30:33], v20, s[8:9] offset:16
	global_load_dwordx2 v[16:17], v20, s[8:9] offset:32
	v_mov_b32_e32 v58, 3
	v_mul_u32_u24_e32 v46, 0x120, v46
	v_lshlrev_b32_sdwa v47, v58, v47 dst_sel:DWORD dst_unused:UNUSED_PAD src0_sel:DWORD src1_sel:BYTE_0
	ds_read2st64_b64 v[34:37], v18 offset0:12 offset1:15
	ds_read2st64_b64 v[38:41], v18 offset0:18 offset1:21
	ds_read2st64_b64 v[42:45], v18 offset0:24 offset1:27
	v_add3_u32 v59, 0, v46, v47
	ds_read2st64_b64 v[46:49], v18 offset1:9
	v_lshl_add_u32 v20, v10, 3, 0
	s_movk_i32 s10, 0xffd8
	v_mul_u32_u24_e32 v21, 0x120, v21
	v_lshlrev_b32_e32 v50, 3, v50
	v_mad_i32_i24 v9, v8, s10, v19
	v_add3_u32 v21, 0, v21, v50
	ds_read_b64 v[50:51], v20
	ds_read_b64 v[52:53], v9
	s_movk_i32 s10, 0x1000
	s_waitcnt vmcnt(5) lgkmcnt(2)
	v_pk_mul_f32 v[54:55], v[48:49], v[12:13] op_sel:[0,1]
	s_nop 0
	v_pk_fma_f32 v[56:57], v[48:49], v[12:13], v[54:55] op_sel:[0,0,1] op_sel_hi:[1,1,0] neg_lo:[0,0,1] neg_hi:[0,0,1]
	v_pk_fma_f32 v[12:13], v[48:49], v[12:13], v[54:55] op_sel:[0,0,1] op_sel_hi:[1,0,0]
	s_nop 0
	v_mov_b32_e32 v12, v15
	v_mov_b32_e32 v57, v13
	v_pk_mul_f32 v[12:13], v[36:37], v[12:13] op_sel_hi:[1,0]
	s_nop 0
	v_pk_fma_f32 v[48:49], v[36:37], v[14:15], v[12:13] op_sel:[0,0,1] op_sel_hi:[1,1,0] neg_lo:[0,0,1] neg_hi:[0,0,1]
	v_pk_fma_f32 v[12:13], v[36:37], v[14:15], v[12:13] op_sel:[0,0,1] op_sel_hi:[1,0,0]
	s_waitcnt vmcnt(3)
	v_pk_mul_f32 v[14:15], v[28:29], v[34:35] op_sel:[0,1]
	v_mov_b32_e32 v49, v13
	v_pk_mul_f32 v[12:13], v[40:41], v[22:23] op_sel:[0,1]
	v_pk_fma_f32 v[36:37], v[28:29], v[34:35], v[14:15] op_sel:[0,0,1] op_sel_hi:[1,1,0] neg_lo:[0,0,1] neg_hi:[0,0,1]
	v_pk_fma_f32 v[28:29], v[28:29], v[34:35], v[14:15] op_sel:[0,0,1] op_sel_hi:[1,0,0]
	s_waitcnt lgkmcnt(1)
	v_pk_mul_f32 v[14:15], v[26:27], v[50:51] op_sel:[0,1]
	v_mov_b32_e32 v37, v29
	v_pk_fma_f32 v[34:35], v[26:27], v[50:51], v[14:15] op_sel:[0,0,1] op_sel_hi:[1,1,0] neg_lo:[0,0,1] neg_hi:[0,0,1]
	v_pk_fma_f32 v[26:27], v[26:27], v[50:51], v[14:15] op_sel:[0,0,1] op_sel_hi:[1,0,0]
	v_pk_fma_f32 v[50:51], v[40:41], v[22:23], v[12:13] op_sel:[0,0,1] op_sel_hi:[1,1,0] neg_lo:[0,0,1] neg_hi:[0,0,1]
	v_pk_fma_f32 v[22:23], v[40:41], v[22:23], v[12:13] op_sel:[0,0,1] op_sel_hi:[1,0,0]
	v_mov_b32_e32 v12, v25
	v_pk_mul_f32 v[12:13], v[44:45], v[12:13] op_sel_hi:[1,0]
	v_mov_b32_e32 v51, v23
	v_pk_fma_f32 v[40:41], v[44:45], v[24:25], v[12:13] op_sel:[0,0,1] op_sel_hi:[1,1,0] neg_lo:[0,0,1] neg_hi:[0,0,1]
	v_pk_fma_f32 v[24:25], v[44:45], v[24:25], v[12:13] op_sel:[0,0,1] op_sel_hi:[1,0,0]
	ds_read2st64_b64 v[12:15], v18 offset0:30 offset1:33
	v_mov_b32_e32 v41, v25
	v_mov_b32_e32 v35, v27
	s_waitcnt lgkmcnt(0)
	s_barrier
	s_waitcnt vmcnt(2)
	v_pk_mul_f32 v[22:23], v[14:15], v[0:1] op_sel:[0,1]
	s_nop 0
	v_pk_fma_f32 v[24:25], v[14:15], v[0:1], v[22:23] op_sel:[0,0,1] op_sel_hi:[1,1,0] neg_lo:[0,0,1] neg_hi:[0,0,1]
	v_pk_fma_f32 v[0:1], v[14:15], v[0:1], v[22:23] op_sel:[0,0,1] op_sel_hi:[1,0,0]
	v_pk_add_f32 v[22:23], v[52:53], v[48:49]
	v_mov_b32_e32 v25, v1
	s_waitcnt vmcnt(1)
	v_pk_mul_f32 v[0:1], v[30:31], v[38:39] op_sel:[0,1]
	v_pk_add_f32 v[22:23], v[22:23], v[40:41]
	v_pk_fma_f32 v[14:15], v[30:31], v[38:39], v[0:1] op_sel:[0,0,1] op_sel_hi:[1,1,0] neg_lo:[0,0,1] neg_hi:[0,0,1]
	v_pk_fma_f32 v[0:1], v[30:31], v[38:39], v[0:1] op_sel:[0,0,1] op_sel_hi:[1,0,0]
	v_pk_add_f32 v[30:31], v[56:57], v[50:51]
	v_mov_b32_e32 v15, v1
	v_pk_mul_f32 v[0:1], v[32:33], v[42:43] op_sel:[0,1]
	v_pk_add_f32 v[30:31], v[30:31], v[24:25]
	v_pk_fma_f32 v[28:29], v[32:33], v[42:43], v[0:1] op_sel:[0,0,1] op_sel_hi:[1,1,0] neg_lo:[0,0,1] neg_hi:[0,0,1]
	v_pk_fma_f32 v[0:1], v[32:33], v[42:43], v[0:1] op_sel:[0,0,1] op_sel_hi:[1,0,0]
	v_pk_add_f32 v[26:27], v[22:23], v[30:31]
	v_mov_b32_e32 v29, v1
	s_waitcnt vmcnt(0)
	v_pk_mul_f32 v[0:1], v[16:17], v[12:13] op_sel:[0,1]
	v_pk_add_f32 v[38:39], v[36:37], v[28:29]
	v_pk_fma_f32 v[32:33], v[16:17], v[12:13], v[0:1] op_sel:[0,0,1] op_sel_hi:[1,1,0] neg_lo:[0,0,1] neg_hi:[0,0,1]
	v_pk_fma_f32 v[0:1], v[16:17], v[12:13], v[0:1] op_sel:[0,0,1] op_sel_hi:[1,0,0]
	v_pk_add_f32 v[12:13], v[34:35], v[14:15]
	v_mov_b32_e32 v33, v1
	v_pk_add_f32 v[0:1], v[46:47], v[36:37]
	v_pk_add_f32 v[42:43], v[14:15], v[32:33]
	;; [unrolled: 1-line block ×3, first 2 shown]
	v_pk_add_f32 v[28:29], v[36:37], v[28:29] neg_lo:[0,1] neg_hi:[0,1]
	v_pk_fma_f32 v[38:39], v[38:39], 0.5, v[46:47] op_sel_hi:[1,0,1] neg_lo:[1,0,0] neg_hi:[1,0,0]
	v_pk_mul_f32 v[28:29], v[28:29], s[4:5] op_sel_hi:[1,0]
	v_pk_fma_f32 v[34:35], v[42:43], 0.5, v[34:35] op_sel_hi:[1,0,1] neg_lo:[1,0,0] neg_hi:[1,0,0]
	v_pk_add_f32 v[14:15], v[14:15], v[32:33] neg_lo:[0,1] neg_hi:[0,1]
	v_pk_add_f32 v[12:13], v[12:13], v[32:33]
	v_pk_add_f32 v[36:37], v[28:29], v[38:39] op_sel:[1,0] op_sel_hi:[0,1]
	v_pk_fma_f32 v[32:33], v[14:15], s[4:5], v[34:35] op_sel:[0,0,1] op_sel_hi:[1,0,0]
	v_pk_fma_f32 v[14:15], v[14:15], s[4:5], v[34:35] op_sel:[0,0,1] op_sel_hi:[1,0,0] neg_lo:[1,0,0] neg_hi:[1,0,0]
	v_pk_add_f32 v[28:29], v[38:39], v[28:29] op_sel:[0,1] op_sel_hi:[1,0] neg_lo:[0,1] neg_hi:[0,1]
	v_mov_b32_e32 v39, v37
	v_mov_b32_e32 v34, v32
	;; [unrolled: 1-line block ×3, first 2 shown]
	v_mul_f32_e32 v37, 0xbf5db3d7, v33
	v_mov_b32_e32 v38, v28
	v_mul_f32_e32 v28, 0x3f5db3d7, v14
	v_fmac_f32_e32 v37, 0.5, v14
	v_pk_mul_f32 v[14:15], v[34:35], 0.5 op_sel_hi:[1,0]
	v_pk_add_f32 v[16:17], v[0:1], v[12:13]
	v_pk_fma_f32 v[14:15], v[34:35], s[4:5], v[14:15] op_sel:[0,0,1] op_sel_hi:[1,1,0] neg_lo:[0,0,1] neg_hi:[0,0,1]
	v_fmac_f32_e32 v28, 0.5, v33
	v_pk_add_f32 v[34:35], v[38:39], v[14:15]
	v_pk_add_f32 v[0:1], v[0:1], v[12:13] neg_lo:[0,1] neg_hi:[0,1]
	v_add_f32_e32 v32, v36, v28
	v_add_f32_e32 v33, v29, v37
	v_sub_f32_e32 v28, v36, v28
	v_sub_f32_e32 v29, v29, v37
	ds_write2_b64 v59, v[34:35], v[0:1] offset0:12 offset1:18
	v_pk_add_f32 v[0:1], v[38:39], v[14:15] neg_lo:[0,1] neg_hi:[0,1]
	ds_write2_b64 v59, v[16:17], v[32:33] offset1:6
	ds_write2_b64 v59, v[28:29], v[0:1] offset0:24 offset1:30
	v_pk_add_f32 v[0:1], v[48:49], v[40:41]
	v_pk_add_f32 v[12:13], v[48:49], v[40:41] neg_lo:[0,1] neg_hi:[0,1]
	v_pk_add_f32 v[16:17], v[50:51], v[24:25]
	v_pk_fma_f32 v[0:1], v[0:1], 0.5, v[52:53] op_sel_hi:[1,0,1] neg_lo:[1,0,0] neg_hi:[1,0,0]
	v_pk_mul_f32 v[12:13], v[12:13], s[4:5] op_sel_hi:[1,0]
	v_pk_fma_f32 v[16:17], v[16:17], 0.5, v[56:57] op_sel_hi:[1,0,1] neg_lo:[1,0,0] neg_hi:[1,0,0]
	v_pk_add_f32 v[24:25], v[50:51], v[24:25] neg_lo:[0,1] neg_hi:[0,1]
	v_pk_add_f32 v[14:15], v[12:13], v[0:1] op_sel:[1,0] op_sel_hi:[0,1]
	v_pk_fma_f32 v[28:29], v[24:25], s[4:5], v[16:17] op_sel:[0,0,1] op_sel_hi:[1,0,0]
	v_pk_fma_f32 v[16:17], v[24:25], s[4:5], v[16:17] op_sel:[0,0,1] op_sel_hi:[1,0,0] neg_lo:[1,0,0] neg_hi:[1,0,0]
	v_pk_add_f32 v[0:1], v[0:1], v[12:13] op_sel:[0,1] op_sel_hi:[1,0] neg_lo:[0,1] neg_hi:[0,1]
	v_mov_b32_e32 v13, v15
	v_mov_b32_e32 v24, v28
	;; [unrolled: 1-line block ×3, first 2 shown]
	v_mul_f32_e32 v15, 0xbf5db3d7, v29
	v_mov_b32_e32 v12, v0
	v_mul_f32_e32 v0, 0x3f5db3d7, v16
	v_fmac_f32_e32 v15, 0.5, v16
	v_pk_mul_f32 v[16:17], v[24:25], 0.5 op_sel_hi:[1,0]
	v_fmac_f32_e32 v0, 0.5, v29
	v_pk_fma_f32 v[16:17], v[24:25], s[4:5], v[16:17] op_sel:[0,0,1] op_sel_hi:[1,1,0] neg_lo:[0,0,1] neg_hi:[0,0,1]
	v_add_f32_e32 v28, v14, v0
	v_add_f32_e32 v29, v1, v15
	v_pk_add_f32 v[24:25], v[12:13], v[16:17]
	v_sub_f32_e32 v0, v14, v0
	v_sub_f32_e32 v1, v1, v15
	v_pk_add_f32 v[14:15], v[22:23], v[30:31] neg_lo:[0,1] neg_hi:[0,1]
	v_pk_add_f32 v[12:13], v[12:13], v[16:17] neg_lo:[0,1] neg_hi:[0,1]
	s_mov_b32 s4, 0xe38f
	ds_write2_b64 v21, v[26:27], v[28:29] offset1:6
	ds_write2_b64 v21, v[24:25], v[14:15] offset0:12 offset1:18
	ds_write2_b64 v21, v[0:1], v[12:13] offset0:24 offset1:30
	v_mul_u32_u24_sdwa v21, v10, s4 dst_sel:DWORD dst_unused:UNUSED_PAD src0_sel:WORD_0 src1_sel:DWORD
	v_lshrrev_b32_e32 v46, 21, v21
	v_mul_lo_u16_e32 v0, 36, v46
	v_sub_u16_e32 v47, v10, v0
	v_mul_u32_u24_e32 v0, 3, v47
	v_lshlrev_b32_e32 v16, 3, v0
	s_waitcnt lgkmcnt(0)
	s_barrier
	global_load_dwordx4 v[12:15], v16, s[8:9] offset:240
	global_load_dwordx2 v[0:1], v16, s[8:9] offset:256
	v_mul_u32_u24_sdwa v56, v11, s4 dst_sel:DWORD dst_unused:UNUSED_PAD src0_sel:WORD_0 src1_sel:DWORD
	v_lshrrev_b32_e32 v48, 21, v56
	v_mul_lo_u16_e32 v16, 36, v48
	v_sub_u16_e32 v49, v11, v16
	v_mul_u32_u24_e32 v16, 3, v49
	v_lshlrev_b32_e32 v26, 3, v16
	global_load_dwordx4 v[22:25], v26, s[8:9] offset:240
	global_load_dwordx2 v[16:17], v26, s[8:9] offset:256
	v_mov_b32_e32 v26, 57
	v_mul_lo_u16_sdwa v26, v6, v26 dst_sel:DWORD dst_unused:UNUSED_PAD src0_sel:BYTE_0 src1_sel:DWORD
	v_lshrrev_b16_e32 v52, 11, v26
	v_mul_lo_u16_e32 v26, 36, v52
	v_sub_u16_e32 v53, v6, v26
	v_mul_u32_u24_sdwa v26, v53, v58 dst_sel:DWORD dst_unused:UNUSED_PAD src0_sel:BYTE_0 src1_sel:DWORD
	v_lshlrev_b32_e32 v30, 3, v26
	global_load_dwordx4 v[26:29], v30, s[8:9] offset:240
	global_load_dwordx2 v[50:51], v30, s[8:9] offset:256
	ds_read2st64_b64 v[30:33], v18 offset1:9
	ds_read2st64_b64 v[34:37], v18 offset0:18 offset1:21
	ds_read2st64_b64 v[38:41], v18 offset0:24 offset1:27
	;; [unrolled: 1-line block ×3, first 2 shown]
	s_mov_b32 s5, 0x5040100
	s_movk_i32 s4, 0x480
	v_perm_b32 v46, v48, v46, s5
	v_pk_mul_lo_u16 v46, v46, s4 op_sel_hi:[1,0]
	v_mul_u32_u24_e32 v52, 0x480, v52
	v_lshlrev_b32_sdwa v53, v58, v53 dst_sel:DWORD dst_unused:UNUSED_PAD src0_sel:DWORD src1_sel:BYTE_0
	v_lshrrev_b32_e32 v48, 16, v46
	v_lshlrev_b32_e32 v49, 3, v49
	v_and_b32_e32 v46, 0xff80, v46
	v_lshlrev_b32_e32 v47, 3, v47
	v_add3_u32 v57, 0, v52, v53
	v_add3_u32 v58, 0, v48, v49
	;; [unrolled: 1-line block ×3, first 2 shown]
	ds_read2st64_b64 v[46:49], v18 offset0:30 offset1:33
	v_lshrrev_b32_e32 v21, 23, v21
	s_movk_i32 s4, 0x90
	v_cmp_gt_u32_e32 vcc, s4, v6
	s_movk_i32 s4, 0x8f
	s_waitcnt vmcnt(5) lgkmcnt(1)
	v_pk_mul_f32 v[52:53], v[44:45], v[12:13] op_sel:[0,1]
	s_nop 0
	v_pk_fma_f32 v[54:55], v[44:45], v[12:13], v[52:53] op_sel:[0,0,1] op_sel_hi:[1,1,0] neg_lo:[0,0,1] neg_hi:[0,0,1]
	v_pk_fma_f32 v[12:13], v[44:45], v[12:13], v[52:53] op_sel:[0,0,1] op_sel_hi:[1,0,0]
	s_nop 0
	v_mov_b32_e32 v12, v15
	v_mov_b32_e32 v55, v13
	v_pk_mul_f32 v[12:13], v[38:39], v[12:13] op_sel_hi:[1,0]
	s_nop 0
	v_pk_fma_f32 v[44:45], v[38:39], v[14:15], v[12:13] op_sel:[0,0,1] op_sel_hi:[1,1,0] neg_lo:[0,0,1] neg_hi:[0,0,1]
	v_pk_fma_f32 v[12:13], v[38:39], v[14:15], v[12:13] op_sel:[0,0,1] op_sel_hi:[1,0,0]
	s_nop 0
	v_mov_b32_e32 v45, v13
	s_waitcnt vmcnt(4) lgkmcnt(0)
	v_pk_mul_f32 v[12:13], v[48:49], v[0:1] op_sel:[0,1]
	s_nop 0
	v_pk_fma_f32 v[14:15], v[48:49], v[0:1], v[12:13] op_sel:[0,0,1] op_sel_hi:[1,1,0] neg_lo:[0,0,1] neg_hi:[0,0,1]
	v_pk_fma_f32 v[0:1], v[48:49], v[0:1], v[12:13] op_sel:[0,0,1] op_sel_hi:[1,0,0]
	s_waitcnt vmcnt(3)
	v_pk_mul_f32 v[12:13], v[22:23], v[42:43] op_sel:[0,1]
	v_mov_b32_e32 v15, v1
	ds_read_b64 v[0:1], v20
	v_pk_fma_f32 v[38:39], v[22:23], v[42:43], v[12:13] op_sel:[0,0,1] op_sel_hi:[1,1,0] neg_lo:[0,0,1] neg_hi:[0,0,1]
	v_pk_fma_f32 v[12:13], v[22:23], v[42:43], v[12:13] op_sel:[0,0,1] op_sel_hi:[1,0,0]
	ds_read_b64 v[22:23], v9
	v_mov_b32_e32 v39, v13
	v_pk_mul_f32 v[12:13], v[24:25], v[36:37] op_sel:[0,1]
	s_waitcnt lgkmcnt(0)
	v_pk_fma_f32 v[48:49], v[24:25], v[36:37], v[12:13] op_sel:[0,0,1] op_sel_hi:[1,1,0] neg_lo:[0,0,1] neg_hi:[0,0,1]
	v_pk_fma_f32 v[12:13], v[24:25], v[36:37], v[12:13] op_sel:[0,0,1] op_sel_hi:[1,0,0]
	s_waitcnt vmcnt(1)
	v_pk_mul_f32 v[36:37], v[26:27], v[32:33] op_sel:[0,1]
	v_mov_b32_e32 v49, v13
	v_pk_mul_f32 v[12:13], v[46:47], v[16:17] op_sel:[0,1]
	s_barrier
	v_pk_fma_f32 v[24:25], v[46:47], v[16:17], v[12:13] op_sel:[0,0,1] op_sel_hi:[1,1,0] neg_lo:[0,0,1] neg_hi:[0,0,1]
	v_pk_fma_f32 v[12:13], v[46:47], v[16:17], v[12:13] op_sel:[0,0,1] op_sel_hi:[1,0,0]
	s_nop 0
	v_mov_b32_e32 v25, v13
	v_pk_add_f32 v[12:13], v[22:23], v[48:49] neg_lo:[0,1] neg_hi:[0,1]
	v_pk_add_f32 v[42:43], v[0:1], v[44:45] neg_lo:[0,1] neg_hi:[0,1]
	v_pk_fma_f32 v[16:17], v[22:23], 2.0, v[12:13] op_sel_hi:[1,0,1] neg_lo:[0,0,1] neg_hi:[0,0,1]
	v_pk_add_f32 v[22:23], v[38:39], v[24:25] neg_lo:[0,1] neg_hi:[0,1]
	v_pk_add_f32 v[14:15], v[54:55], v[14:15] neg_lo:[0,1] neg_hi:[0,1]
	v_pk_fma_f32 v[24:25], v[38:39], 2.0, v[22:23] op_sel_hi:[1,0,1] neg_lo:[0,0,1] neg_hi:[0,0,1]
	v_pk_fma_f32 v[38:39], v[26:27], v[32:33], v[36:37] op_sel:[0,0,1] op_sel_hi:[1,1,0] neg_lo:[0,0,1] neg_hi:[0,0,1]
	v_pk_fma_f32 v[26:27], v[26:27], v[32:33], v[36:37] op_sel:[0,0,1] op_sel_hi:[1,0,0]
	v_pk_add_f32 v[24:25], v[16:17], v[24:25] neg_lo:[0,1] neg_hi:[0,1]
	v_mov_b32_e32 v39, v27
	v_pk_mul_f32 v[26:27], v[28:29], v[34:35] op_sel:[0,1]
	v_pk_fma_f32 v[16:17], v[16:17], 2.0, v[24:25] op_sel_hi:[1,0,1] neg_lo:[0,0,1] neg_hi:[0,0,1]
	v_pk_fma_f32 v[32:33], v[28:29], v[34:35], v[26:27] op_sel:[0,0,1] op_sel_hi:[1,1,0] neg_lo:[0,0,1] neg_hi:[0,0,1]
	v_pk_fma_f32 v[26:27], v[28:29], v[34:35], v[26:27] op_sel:[0,0,1] op_sel_hi:[1,0,0]
	v_pk_fma_f32 v[0:1], v[0:1], 2.0, v[42:43] op_sel_hi:[1,0,1] neg_lo:[0,0,1] neg_hi:[0,0,1]
	v_mov_b32_e32 v33, v27
	s_waitcnt vmcnt(0)
	v_pk_mul_f32 v[26:27], v[50:51], v[40:41] op_sel:[0,1]
	v_pk_fma_f32 v[44:45], v[54:55], 2.0, v[14:15] op_sel_hi:[1,0,1] neg_lo:[0,0,1] neg_hi:[0,0,1]
	v_pk_fma_f32 v[28:29], v[50:51], v[40:41], v[26:27] op_sel:[0,0,1] op_sel_hi:[1,1,0] neg_lo:[0,0,1] neg_hi:[0,0,1]
	v_pk_fma_f32 v[26:27], v[50:51], v[40:41], v[26:27] op_sel:[0,0,1] op_sel_hi:[1,0,0]
	v_pk_add_f32 v[44:45], v[0:1], v[44:45] neg_lo:[0,1] neg_hi:[0,1]
	v_mov_b32_e32 v29, v27
	v_pk_add_f32 v[26:27], v[30:31], v[32:33] neg_lo:[0,1] neg_hi:[0,1]
	v_pk_add_f32 v[28:29], v[38:39], v[28:29] neg_lo:[0,1] neg_hi:[0,1]
	v_pk_fma_f32 v[30:31], v[30:31], 2.0, v[26:27] op_sel_hi:[1,0,1] neg_lo:[0,0,1] neg_hi:[0,0,1]
	v_pk_fma_f32 v[32:33], v[38:39], 2.0, v[28:29] op_sel_hi:[1,0,1] neg_lo:[0,0,1] neg_hi:[0,0,1]
	v_pk_add_f32 v[34:35], v[26:27], v[28:29] op_sel:[0,1] op_sel_hi:[1,0] neg_lo:[0,1] neg_hi:[0,1]
	v_pk_add_f32 v[28:29], v[26:27], v[28:29] op_sel:[0,1] op_sel_hi:[1,0]
	v_pk_add_f32 v[32:33], v[30:31], v[32:33] neg_lo:[0,1] neg_hi:[0,1]
	v_mov_b32_e32 v35, v29
	v_pk_fma_f32 v[30:31], v[30:31], 2.0, v[32:33] op_sel_hi:[1,0,1] neg_lo:[0,0,1] neg_hi:[0,0,1]
	v_pk_fma_f32 v[26:27], v[26:27], 2.0, v[34:35] op_sel_hi:[1,0,1] neg_lo:[0,0,1] neg_hi:[0,0,1]
	ds_write2_b64 v57, v[30:31], v[26:27] offset1:36
	ds_write2_b64 v57, v[32:33], v[34:35] offset0:72 offset1:108
	v_pk_add_f32 v[26:27], v[12:13], v[22:23] op_sel:[0,1] op_sel_hi:[1,0] neg_lo:[0,1] neg_hi:[0,1]
	v_pk_add_f32 v[22:23], v[12:13], v[22:23] op_sel:[0,1] op_sel_hi:[1,0]
	v_pk_fma_f32 v[0:1], v[0:1], 2.0, v[44:45] op_sel_hi:[1,0,1] neg_lo:[0,0,1] neg_hi:[0,0,1]
	v_mov_b32_e32 v27, v23
	v_pk_fma_f32 v[12:13], v[12:13], 2.0, v[26:27] op_sel_hi:[1,0,1] neg_lo:[0,0,1] neg_hi:[0,0,1]
	ds_write2_b64 v58, v[16:17], v[12:13] offset1:36
	ds_write2_b64 v58, v[24:25], v[26:27] offset0:72 offset1:108
	v_pk_add_f32 v[12:13], v[42:43], v[14:15] op_sel:[0,1] op_sel_hi:[1,0] neg_lo:[0,1] neg_hi:[0,1]
	v_pk_add_f32 v[14:15], v[42:43], v[14:15] op_sel:[0,1] op_sel_hi:[1,0]
	v_lshrrev_b32_e32 v47, 23, v56
	v_mov_b32_e32 v13, v15
	v_pk_fma_f32 v[14:15], v[42:43], 2.0, v[12:13] op_sel_hi:[1,0,1] neg_lo:[0,0,1] neg_hi:[0,0,1]
	ds_write2_b64 v59, v[0:1], v[14:15] offset1:36
	ds_write2_b64 v59, v[44:45], v[12:13] offset0:72 offset1:108
	v_mul_lo_u16_e32 v0, 0x90, v21
	v_sub_u16_e32 v46, v10, v0
	v_mul_u32_u24_e32 v0, 3, v46
	v_lshlrev_b32_e32 v0, 3, v0
	s_waitcnt lgkmcnt(0)
	s_barrier
	global_load_dwordx4 v[12:15], v0, s[8:9] offset:1104
	global_load_dwordx2 v[16:17], v0, s[8:9] offset:1120
	v_mul_lo_u16_e32 v0, 0x90, v47
	v_sub_u16_e32 v11, v11, v0
	v_mul_u32_u24_e32 v0, 3, v11
	v_lshlrev_b32_e32 v0, 3, v0
	global_load_dwordx4 v[22:25], v0, s[8:9] offset:1104
	global_load_dwordx2 v[50:51], v0, s[8:9] offset:1120
	v_add_u32_e32 v0, 0xffffff70, v6
	v_cndmask_b32_e32 v48, v0, v6, vcc
	v_mul_i32_i24_e32 v0, 3, v48
	v_mov_b32_e32 v1, 0
	v_lshl_add_u64 v[30:31], v[0:1], 3, s[8:9]
	global_load_dwordx4 v[26:29], v[30:31], off offset:1104
	global_load_dwordx2 v[52:53], v[30:31], off offset:1120
	ds_read2st64_b64 v[30:33], v18 offset1:9
	ds_read2st64_b64 v[34:37], v18 offset0:18 offset1:21
	ds_read2st64_b64 v[38:41], v18 offset0:24 offset1:27
	;; [unrolled: 1-line block ×3, first 2 shown]
	v_mov_b32_e32 v0, 0x1200
	v_cmp_lt_u32_e32 vcc, s4, v6
	v_lshlrev_b32_e32 v48, 3, v48
	v_lshlrev_b32_e32 v11, 3, v11
	v_cndmask_b32_e32 v0, 0, v0, vcc
	v_add3_u32 v58, 0, v0, v48
	v_mul_u32_u24_e32 v0, 0x1200, v47
	v_add3_u32 v11, 0, v0, v11
	v_mul_u32_u24_e32 v0, 0x1200, v21
	v_lshlrev_b32_e32 v21, 3, v46
	ds_read2st64_b64 v[46:49], v18 offset0:30 offset1:33
	v_add3_u32 v21, 0, v0, v21
	s_mov_b64 s[4:5], 0x11d0
	s_waitcnt vmcnt(5) lgkmcnt(1)
	v_pk_mul_f32 v[54:55], v[44:45], v[12:13] op_sel:[0,1]
	s_nop 0
	v_pk_fma_f32 v[56:57], v[44:45], v[12:13], v[54:55] op_sel:[0,0,1] op_sel_hi:[1,1,0] neg_lo:[0,0,1] neg_hi:[0,0,1]
	v_pk_fma_f32 v[12:13], v[44:45], v[12:13], v[54:55] op_sel:[0,0,1] op_sel_hi:[1,0,0]
	v_mov_b32_e32 v0, v15
	v_mov_b32_e32 v57, v13
	v_pk_mul_f32 v[12:13], v[38:39], v[0:1] op_sel_hi:[1,0]
	v_add_u32_e32 v0, 0x800, v58
	v_pk_fma_f32 v[44:45], v[38:39], v[14:15], v[12:13] op_sel:[0,0,1] op_sel_hi:[1,1,0] neg_lo:[0,0,1] neg_hi:[0,0,1]
	v_pk_fma_f32 v[12:13], v[38:39], v[14:15], v[12:13] op_sel:[0,0,1] op_sel_hi:[1,0,0]
	s_nop 0
	v_mov_b32_e32 v45, v13
	s_waitcnt vmcnt(4) lgkmcnt(0)
	v_pk_mul_f32 v[12:13], v[48:49], v[16:17] op_sel:[0,1]
	s_nop 0
	v_pk_fma_f32 v[14:15], v[48:49], v[16:17], v[12:13] op_sel:[0,0,1] op_sel_hi:[1,1,0] neg_lo:[0,0,1] neg_hi:[0,0,1]
	v_pk_fma_f32 v[12:13], v[48:49], v[16:17], v[12:13] op_sel:[0,0,1] op_sel_hi:[1,0,0]
	s_waitcnt vmcnt(3)
	v_pk_mul_f32 v[16:17], v[22:23], v[42:43] op_sel:[0,1]
	v_mov_b32_e32 v15, v13
	v_pk_fma_f32 v[38:39], v[22:23], v[42:43], v[16:17] op_sel:[0,0,1] op_sel_hi:[1,1,0] neg_lo:[0,0,1] neg_hi:[0,0,1]
	v_pk_fma_f32 v[16:17], v[22:23], v[42:43], v[16:17] op_sel:[0,0,1] op_sel_hi:[1,0,0]
	ds_read_b64 v[12:13], v20
	ds_read_b64 v[22:23], v9
	v_mov_b32_e32 v39, v17
	v_pk_mul_f32 v[16:17], v[24:25], v[36:37] op_sel:[0,1]
	s_waitcnt lgkmcnt(0)
	v_pk_fma_f32 v[48:49], v[24:25], v[36:37], v[16:17] op_sel:[0,0,1] op_sel_hi:[1,1,0] neg_lo:[0,0,1] neg_hi:[0,0,1]
	v_pk_fma_f32 v[16:17], v[24:25], v[36:37], v[16:17] op_sel:[0,0,1] op_sel_hi:[1,0,0]
	s_barrier
	v_mov_b32_e32 v49, v17
	s_waitcnt vmcnt(2)
	v_pk_mul_f32 v[16:17], v[46:47], v[50:51] op_sel:[0,1]
	s_nop 0
	v_pk_fma_f32 v[24:25], v[46:47], v[50:51], v[16:17] op_sel:[0,0,1] op_sel_hi:[1,1,0] neg_lo:[0,0,1] neg_hi:[0,0,1]
	v_pk_fma_f32 v[16:17], v[46:47], v[50:51], v[16:17] op_sel:[0,0,1] op_sel_hi:[1,0,0]
	v_pk_add_f32 v[42:43], v[12:13], v[44:45] neg_lo:[0,1] neg_hi:[0,1]
	v_mov_b32_e32 v25, v17
	v_pk_add_f32 v[24:25], v[38:39], v[24:25] neg_lo:[0,1] neg_hi:[0,1]
	v_pk_add_f32 v[16:17], v[22:23], v[48:49] neg_lo:[0,1] neg_hi:[0,1]
	v_pk_fma_f32 v[36:37], v[38:39], 2.0, v[24:25] op_sel_hi:[1,0,1] neg_lo:[0,0,1] neg_hi:[0,0,1]
	s_waitcnt vmcnt(1)
	v_pk_mul_f32 v[38:39], v[26:27], v[32:33] op_sel:[0,1]
	v_pk_fma_f32 v[22:23], v[22:23], 2.0, v[16:17] op_sel_hi:[1,0,1] neg_lo:[0,0,1] neg_hi:[0,0,1]
	v_pk_fma_f32 v[46:47], v[26:27], v[32:33], v[38:39] op_sel:[0,0,1] op_sel_hi:[1,1,0] neg_lo:[0,0,1] neg_hi:[0,0,1]
	v_pk_fma_f32 v[26:27], v[26:27], v[32:33], v[38:39] op_sel:[0,0,1] op_sel_hi:[1,0,0]
	v_pk_add_f32 v[36:37], v[22:23], v[36:37] neg_lo:[0,1] neg_hi:[0,1]
	v_mov_b32_e32 v47, v27
	v_pk_mul_f32 v[26:27], v[28:29], v[34:35] op_sel:[0,1]
	v_pk_add_f32 v[14:15], v[56:57], v[14:15] neg_lo:[0,1] neg_hi:[0,1]
	v_pk_fma_f32 v[32:33], v[28:29], v[34:35], v[26:27] op_sel:[0,0,1] op_sel_hi:[1,1,0] neg_lo:[0,0,1] neg_hi:[0,0,1]
	v_pk_fma_f32 v[26:27], v[28:29], v[34:35], v[26:27] op_sel:[0,0,1] op_sel_hi:[1,0,0]
	v_pk_fma_f32 v[22:23], v[22:23], 2.0, v[36:37] op_sel_hi:[1,0,1] neg_lo:[0,0,1] neg_hi:[0,0,1]
	v_mov_b32_e32 v33, v27
	s_waitcnt vmcnt(0)
	v_pk_mul_f32 v[26:27], v[52:53], v[40:41] op_sel:[0,1]
	v_pk_fma_f32 v[12:13], v[12:13], 2.0, v[42:43] op_sel_hi:[1,0,1] neg_lo:[0,0,1] neg_hi:[0,0,1]
	v_pk_fma_f32 v[28:29], v[52:53], v[40:41], v[26:27] op_sel:[0,0,1] op_sel_hi:[1,1,0] neg_lo:[0,0,1] neg_hi:[0,0,1]
	v_pk_fma_f32 v[26:27], v[52:53], v[40:41], v[26:27] op_sel:[0,0,1] op_sel_hi:[1,0,0]
	v_pk_fma_f32 v[44:45], v[56:57], 2.0, v[14:15] op_sel_hi:[1,0,1] neg_lo:[0,0,1] neg_hi:[0,0,1]
	v_mov_b32_e32 v29, v27
	v_pk_add_f32 v[26:27], v[30:31], v[32:33] neg_lo:[0,1] neg_hi:[0,1]
	v_pk_add_f32 v[28:29], v[46:47], v[28:29] neg_lo:[0,1] neg_hi:[0,1]
	v_pk_fma_f32 v[30:31], v[30:31], 2.0, v[26:27] op_sel_hi:[1,0,1] neg_lo:[0,0,1] neg_hi:[0,0,1]
	v_pk_fma_f32 v[32:33], v[46:47], 2.0, v[28:29] op_sel_hi:[1,0,1] neg_lo:[0,0,1] neg_hi:[0,0,1]
	v_pk_add_f32 v[34:35], v[26:27], v[28:29] op_sel:[0,1] op_sel_hi:[1,0] neg_lo:[0,1] neg_hi:[0,1]
	v_pk_add_f32 v[28:29], v[26:27], v[28:29] op_sel:[0,1] op_sel_hi:[1,0]
	v_pk_add_f32 v[32:33], v[30:31], v[32:33] neg_lo:[0,1] neg_hi:[0,1]
	v_mov_b32_e32 v35, v29
	v_pk_fma_f32 v[30:31], v[30:31], 2.0, v[32:33] op_sel_hi:[1,0,1] neg_lo:[0,0,1] neg_hi:[0,0,1]
	v_pk_fma_f32 v[26:27], v[26:27], 2.0, v[34:35] op_sel_hi:[1,0,1] neg_lo:[0,0,1] neg_hi:[0,0,1]
	ds_write2_b64 v58, v[30:31], v[26:27] offset1:144
	v_pk_add_f32 v[26:27], v[16:17], v[24:25] op_sel:[0,1] op_sel_hi:[1,0] neg_lo:[0,1] neg_hi:[0,1]
	v_pk_add_f32 v[24:25], v[16:17], v[24:25] op_sel:[0,1] op_sel_hi:[1,0]
	ds_write2_b64 v0, v[32:33], v[34:35] offset0:32 offset1:176
	v_mov_b32_e32 v27, v25
	v_pk_fma_f32 v[16:17], v[16:17], 2.0, v[26:27] op_sel_hi:[1,0,1] neg_lo:[0,0,1] neg_hi:[0,0,1]
	ds_write2_b64 v11, v[22:23], v[16:17] offset1:144
	v_add_u32_e32 v0, 0x800, v11
	v_pk_add_f32 v[16:17], v[42:43], v[14:15] op_sel:[0,1] op_sel_hi:[1,0] neg_lo:[0,1] neg_hi:[0,1]
	v_pk_add_f32 v[14:15], v[42:43], v[14:15] op_sel:[0,1] op_sel_hi:[1,0]
	v_pk_add_f32 v[44:45], v[12:13], v[44:45] neg_lo:[0,1] neg_hi:[0,1]
	ds_write2_b64 v0, v[36:37], v[26:27] offset0:32 offset1:176
	v_mov_b32_e32 v17, v15
	v_add_u32_e32 v0, 0x800, v21
	ds_write2_b64 v0, v[44:45], v[16:17] offset0:32 offset1:176
	v_mul_u32_u24_e32 v0, 3, v6
	v_lshlrev_b32_e32 v0, 3, v0
	v_pk_fma_f32 v[14:15], v[42:43], 2.0, v[16:17] op_sel_hi:[1,0,1] neg_lo:[0,0,1] neg_hi:[0,0,1]
	v_lshl_add_u64 v[16:17], s[8:9], 0, v[0:1]
	v_mul_i32_i24_e32 v0, 3, v8
	v_lshl_add_u64 v[26:27], v[0:1], 3, s[8:9]
	v_mul_i32_i24_e32 v0, 3, v10
	v_pk_fma_f32 v[12:13], v[12:13], 2.0, v[44:45] op_sel_hi:[1,0,1] neg_lo:[0,0,1] neg_hi:[0,0,1]
	v_lshl_add_u64 v[22:23], v[0:1], 3, s[8:9]
	ds_write2_b64 v21, v[12:13], v[14:15] offset1:144
	v_add_co_u32_e32 v12, vcc, s10, v22
	s_waitcnt lgkmcnt(0)
	s_nop 0
	v_addc_co_u32_e32 v13, vcc, 0, v23, vcc
	s_barrier
	global_load_dwordx4 v[12:15], v[12:13], off offset:464
	v_lshl_add_u64 v[22:23], v[22:23], 0, s[4:5]
	global_load_dwordx2 v[50:51], v[22:23], off offset:16
	v_add_co_u32_e32 v22, vcc, s10, v26
	s_nop 1
	v_addc_co_u32_e32 v23, vcc, 0, v27, vcc
	global_load_dwordx4 v[22:25], v[22:23], off offset:464
	v_lshl_add_u64 v[26:27], v[26:27], 0, s[4:5]
	global_load_dwordx2 v[52:53], v[26:27], off offset:16
	v_add_co_u32_e32 v26, vcc, s10, v16
	s_nop 1
	v_addc_co_u32_e32 v27, vcc, 0, v17, vcc
	global_load_dwordx4 v[26:29], v[26:27], off offset:464
	v_lshl_add_u64 v[16:17], v[16:17], 0, s[4:5]
	global_load_dwordx2 v[16:17], v[16:17], off offset:16
	ds_read2st64_b64 v[30:33], v18 offset0:12 offset1:15
	ds_read2st64_b64 v[34:37], v18 offset1:9
	ds_read2st64_b64 v[38:41], v18 offset0:18 offset1:21
	ds_read2st64_b64 v[42:45], v18 offset0:24 offset1:27
	;; [unrolled: 1-line block ×3, first 2 shown]
	s_add_u32 s4, s8, 0x47d0
	s_addc_u32 s5, s9, 0
	v_cmp_ne_u32_e32 vcc, 0, v6
	s_waitcnt vmcnt(5) lgkmcnt(4)
	v_pk_mul_f32 v[54:55], v[32:33], v[12:13] op_sel:[0,1]
	s_nop 0
	v_pk_fma_f32 v[56:57], v[32:33], v[12:13], v[54:55] op_sel:[0,0,1] op_sel_hi:[1,1,0] neg_lo:[0,0,1] neg_hi:[0,0,1]
	v_pk_fma_f32 v[12:13], v[32:33], v[12:13], v[54:55] op_sel:[0,0,1] op_sel_hi:[1,0,0]
	v_mov_b32_e32 v0, v15
	v_mov_b32_e32 v57, v13
	s_waitcnt lgkmcnt(1)
	v_pk_mul_f32 v[12:13], v[42:43], v[0:1] op_sel_hi:[1,0]
	v_sub_u32_e32 v0, 0, v7
	v_pk_fma_f32 v[32:33], v[42:43], v[14:15], v[12:13] op_sel:[0,0,1] op_sel_hi:[1,1,0] neg_lo:[0,0,1] neg_hi:[0,0,1]
	v_pk_fma_f32 v[12:13], v[42:43], v[14:15], v[12:13] op_sel:[0,0,1] op_sel_hi:[1,0,0]
	ds_read_b64 v[14:15], v20
	v_mov_b32_e32 v33, v13
	s_waitcnt vmcnt(4) lgkmcnt(1)
	v_pk_mul_f32 v[12:13], v[48:49], v[50:51] op_sel:[0,1]
	s_nop 0
	v_pk_fma_f32 v[42:43], v[48:49], v[50:51], v[12:13] op_sel:[0,0,1] op_sel_hi:[1,1,0] neg_lo:[0,0,1] neg_hi:[0,0,1]
	v_pk_fma_f32 v[12:13], v[48:49], v[50:51], v[12:13] op_sel:[0,0,1] op_sel_hi:[1,0,0]
	s_waitcnt vmcnt(3)
	v_pk_mul_f32 v[50:51], v[22:23], v[30:31] op_sel:[0,1]
	v_mov_b32_e32 v43, v13
	ds_read_b64 v[12:13], v9
	v_pk_fma_f32 v[54:55], v[22:23], v[30:31], v[50:51] op_sel:[0,0,1] op_sel_hi:[1,1,0] neg_lo:[0,0,1] neg_hi:[0,0,1]
	v_pk_fma_f32 v[22:23], v[22:23], v[30:31], v[50:51] op_sel:[0,0,1] op_sel_hi:[1,0,0]
	s_waitcnt lgkmcnt(0)
	v_mov_b32_e32 v55, v23
	v_pk_mul_f32 v[22:23], v[24:25], v[40:41] op_sel:[0,1]
	s_barrier
	v_pk_fma_f32 v[30:31], v[24:25], v[40:41], v[22:23] op_sel:[0,0,1] op_sel_hi:[1,1,0] neg_lo:[0,0,1] neg_hi:[0,0,1]
	v_pk_fma_f32 v[22:23], v[24:25], v[40:41], v[22:23] op_sel:[0,0,1] op_sel_hi:[1,0,0]
	s_waitcnt vmcnt(1)
	v_pk_mul_f32 v[40:41], v[26:27], v[36:37] op_sel:[0,1]
	v_mov_b32_e32 v31, v23
	v_pk_mul_f32 v[22:23], v[46:47], v[52:53] op_sel:[0,1]
	s_nop 0
	v_pk_fma_f32 v[24:25], v[46:47], v[52:53], v[22:23] op_sel:[0,0,1] op_sel_hi:[1,1,0] neg_lo:[0,0,1] neg_hi:[0,0,1]
	v_pk_fma_f32 v[22:23], v[46:47], v[52:53], v[22:23] op_sel:[0,0,1] op_sel_hi:[1,0,0]
	v_pk_fma_f32 v[46:47], v[26:27], v[36:37], v[40:41] op_sel:[0,0,1] op_sel_hi:[1,1,0] neg_lo:[0,0,1] neg_hi:[0,0,1]
	v_pk_fma_f32 v[26:27], v[26:27], v[36:37], v[40:41] op_sel:[0,0,1] op_sel_hi:[1,0,0]
	v_mov_b32_e32 v25, v23
	v_mov_b32_e32 v47, v27
	v_pk_mul_f32 v[26:27], v[28:29], v[38:39] op_sel:[0,1]
	v_pk_add_f32 v[22:23], v[12:13], v[30:31] neg_lo:[0,1] neg_hi:[0,1]
	v_pk_fma_f32 v[36:37], v[28:29], v[38:39], v[26:27] op_sel:[0,0,1] op_sel_hi:[1,1,0] neg_lo:[0,0,1] neg_hi:[0,0,1]
	v_pk_fma_f32 v[26:27], v[28:29], v[38:39], v[26:27] op_sel:[0,0,1] op_sel_hi:[1,0,0]
	v_pk_add_f32 v[24:25], v[54:55], v[24:25] neg_lo:[0,1] neg_hi:[0,1]
	v_mov_b32_e32 v37, v27
	s_waitcnt vmcnt(0)
	v_pk_mul_f32 v[26:27], v[16:17], v[44:45] op_sel:[0,1]
	v_pk_fma_f32 v[12:13], v[12:13], 2.0, v[22:23] op_sel_hi:[1,0,1] neg_lo:[0,0,1] neg_hi:[0,0,1]
	v_pk_fma_f32 v[28:29], v[16:17], v[44:45], v[26:27] op_sel:[0,0,1] op_sel_hi:[1,1,0] neg_lo:[0,0,1] neg_hi:[0,0,1]
	v_pk_fma_f32 v[16:17], v[16:17], v[44:45], v[26:27] op_sel:[0,0,1] op_sel_hi:[1,0,0]
	v_pk_fma_f32 v[30:31], v[54:55], 2.0, v[24:25] op_sel_hi:[1,0,1] neg_lo:[0,0,1] neg_hi:[0,0,1]
	v_mov_b32_e32 v29, v17
	v_pk_add_f32 v[16:17], v[34:35], v[36:37] neg_lo:[0,1] neg_hi:[0,1]
	v_pk_add_f32 v[28:29], v[46:47], v[28:29] neg_lo:[0,1] neg_hi:[0,1]
	v_pk_fma_f32 v[26:27], v[34:35], 2.0, v[16:17] op_sel_hi:[1,0,1] neg_lo:[0,0,1] neg_hi:[0,0,1]
	v_pk_fma_f32 v[34:35], v[46:47], 2.0, v[28:29] op_sel_hi:[1,0,1] neg_lo:[0,0,1] neg_hi:[0,0,1]
	v_pk_add_f32 v[36:37], v[16:17], v[28:29] op_sel:[0,1] op_sel_hi:[1,0] neg_lo:[0,1] neg_hi:[0,1]
	v_pk_add_f32 v[28:29], v[16:17], v[28:29] op_sel:[0,1] op_sel_hi:[1,0]
	v_pk_add_f32 v[34:35], v[26:27], v[34:35] neg_lo:[0,1] neg_hi:[0,1]
	v_mov_b32_e32 v37, v29
	v_pk_fma_f32 v[26:27], v[26:27], 2.0, v[34:35] op_sel_hi:[1,0,1] neg_lo:[0,0,1] neg_hi:[0,0,1]
	v_pk_fma_f32 v[16:17], v[16:17], 2.0, v[36:37] op_sel_hi:[1,0,1] neg_lo:[0,0,1] neg_hi:[0,0,1]
	ds_write2st64_b64 v18, v[26:27], v[16:17] offset1:9
	ds_write2st64_b64 v18, v[34:35], v[36:37] offset0:18 offset1:27
	v_pk_add_f32 v[16:17], v[22:23], v[24:25] op_sel:[0,1] op_sel_hi:[1,0] neg_lo:[0,1] neg_hi:[0,1]
	v_pk_add_f32 v[24:25], v[22:23], v[24:25] op_sel:[0,1] op_sel_hi:[1,0]
	v_pk_add_f32 v[30:31], v[12:13], v[30:31] neg_lo:[0,1] neg_hi:[0,1]
	v_mov_b32_e32 v17, v25
	v_pk_add_f32 v[32:33], v[14:15], v[32:33] neg_lo:[0,1] neg_hi:[0,1]
	v_pk_add_f32 v[42:43], v[56:57], v[42:43] neg_lo:[0,1] neg_hi:[0,1]
	v_pk_fma_f32 v[12:13], v[12:13], 2.0, v[30:31] op_sel_hi:[1,0,1] neg_lo:[0,0,1] neg_hi:[0,0,1]
	v_pk_fma_f32 v[22:23], v[22:23], 2.0, v[16:17] op_sel_hi:[1,0,1] neg_lo:[0,0,1] neg_hi:[0,0,1]
	v_pk_fma_f32 v[14:15], v[14:15], 2.0, v[32:33] op_sel_hi:[1,0,1] neg_lo:[0,0,1] neg_hi:[0,0,1]
	v_pk_fma_f32 v[48:49], v[56:57], 2.0, v[42:43] op_sel_hi:[1,0,1] neg_lo:[0,0,1] neg_hi:[0,0,1]
	ds_write2st64_b64 v9, v[12:13], v[22:23] offset1:9
	ds_write2st64_b64 v9, v[30:31], v[16:17] offset0:18 offset1:27
	v_pk_add_f32 v[12:13], v[32:33], v[42:43] op_sel:[0,1] op_sel_hi:[1,0] neg_lo:[0,1] neg_hi:[0,1]
	v_pk_add_f32 v[16:17], v[32:33], v[42:43] op_sel:[0,1] op_sel_hi:[1,0]
	v_pk_add_f32 v[48:49], v[14:15], v[48:49] neg_lo:[0,1] neg_hi:[0,1]
	v_mov_b32_e32 v13, v17
	v_pk_fma_f32 v[14:15], v[14:15], 2.0, v[48:49] op_sel_hi:[1,0,1] neg_lo:[0,0,1] neg_hi:[0,0,1]
	v_pk_fma_f32 v[16:17], v[32:33], 2.0, v[12:13] op_sel_hi:[1,0,1] neg_lo:[0,0,1] neg_hi:[0,0,1]
	ds_write2st64_b64 v20, v[14:15], v[16:17] offset1:9
	ds_write2st64_b64 v20, v[48:49], v[12:13] offset0:18 offset1:27
	s_waitcnt lgkmcnt(0)
	s_barrier
	ds_read_b64 v[16:17], v18
                                        ; implicit-def: $vgpr15
                                        ; implicit-def: $vgpr12_vgpr13
	s_and_saveexec_b64 s[8:9], vcc
	s_xor_b64 s[8:9], exec, s[8:9]
	s_cbranch_execz .LBB0_15
; %bb.14:
	v_mov_b32_e32 v7, v1
	v_lshl_add_u64 v[12:13], v[6:7], 3, s[4:5]
	global_load_dwordx2 v[12:13], v[12:13], off
	ds_read_b64 v[14:15], v0 offset:18432
	v_mov_b32_e32 v23, 0.5
	v_mov_b32_e32 v24, v23
	s_waitcnt lgkmcnt(0)
	v_pk_add_f32 v[26:27], v[14:15], v[16:17]
	v_pk_add_f32 v[14:15], v[16:17], v[14:15] neg_lo:[0,1] neg_hi:[0,1]
	v_mov_b32_e32 v16, v27
	v_mov_b32_e32 v17, v14
	v_pk_mul_f32 v[16:17], v[16:17], 0.5 op_sel_hi:[1,0]
	s_waitcnt vmcnt(0)
	v_mov_b32_e32 v22, v13
	v_mov_b32_e32 v14, v17
	;; [unrolled: 1-line block ×4, first 2 shown]
	v_pk_mul_f32 v[14:15], v[22:23], v[14:15]
	v_pk_mul_f32 v[28:29], v[12:13], v[16:17] op_sel_hi:[0,1]
	v_pk_fma_f32 v[22:23], v[26:27], v[24:25], v[14:15]
	v_pk_fma_f32 v[24:25], v[26:27], v[24:25], v[14:15] neg_lo:[0,0,1] neg_hi:[0,0,1]
	v_pk_fma_f32 v[14:15], v[12:13], v[16:17], v[22:23] op_sel_hi:[0,1,1] neg_lo:[1,0,0] neg_hi:[1,0,0]
	v_pk_fma_f32 v[12:13], v[12:13], v[16:17], v[24:25] op_sel_hi:[0,1,1] neg_lo:[1,0,0] neg_hi:[1,0,0]
	v_add_f32_e32 v14, v22, v28
                                        ; implicit-def: $vgpr16_vgpr17
.LBB0_15:
	s_or_saveexec_b64 s[8:9], s[8:9]
	v_mul_i32_i24_e32 v1, 0xffffffd8, v8
	s_xor_b64 exec, exec, s[8:9]
	s_cbranch_execz .LBB0_17
; %bb.16:
	s_waitcnt lgkmcnt(0)
	v_mov_b32_e32 v12, v17
	v_pk_add_f32 v[12:13], v[16:17], v[12:13] neg_lo:[0,1] neg_hi:[0,1]
	v_add_f32_e32 v14, v17, v16
	v_mov_b32_e32 v13, 0
	ds_read_b32 v7, v13 offset:9220
	v_mov_b32_e32 v15, v13
	s_waitcnt lgkmcnt(0)
	v_xor_b32_e32 v7, 0x80000000, v7
	ds_write_b32 v13, v7 offset:9220
.LBB0_17:
	s_or_b64 exec, exec, s[8:9]
	v_mov_b32_e32 v9, 0
	s_waitcnt lgkmcnt(0)
	v_lshl_add_u64 v[16:17], v[8:9], 3, s[4:5]
	global_load_dwordx2 v[16:17], v[16:17], off
	v_add_u32_e32 v8, 0x240, v6
	v_mov_b32_e32 v11, v9
	v_lshl_add_u64 v[22:23], v[8:9], 3, s[4:5]
	global_load_dwordx2 v[22:23], v[22:23], off
	v_or_b32_e32 v8, 0x300, v6
	v_lshl_add_u64 v[10:11], v[10:11], 3, s[4:5]
	v_lshl_add_u64 v[24:25], v[8:9], 3, s[4:5]
	global_load_dwordx2 v[24:25], v[24:25], off
	v_add_u32_e32 v8, 0x3c0, v6
	global_load_dwordx2 v[10:11], v[10:11], off
	ds_write_b64 v18, v[14:15]
	ds_write_b64 v0, v[12:13] offset:18432
	v_add_u32_e32 v1, v19, v1
	v_lshl_add_u64 v[30:31], v[8:9], 3, s[4:5]
	ds_read_b64 v[14:15], v1
	ds_read_b64 v[26:27], v0 offset:16896
	global_load_dwordx2 v[30:31], v[30:31], off
	v_mov_b32_e32 v13, 0.5
	v_mov_b32_e32 v28, v13
	s_waitcnt lgkmcnt(0)
	v_pk_add_f32 v[32:33], v[14:15], v[26:27]
	v_pk_add_f32 v[14:15], v[14:15], v[26:27] neg_lo:[0,1] neg_hi:[0,1]
	v_mov_b32_e32 v26, v33
	v_mov_b32_e32 v27, v14
	v_pk_mul_f32 v[26:27], v[26:27], 0.5 op_sel_hi:[1,0]
	s_waitcnt vmcnt(4)
	v_mov_b32_e32 v29, v17
	v_mov_b32_e32 v33, v26
	;; [unrolled: 1-line block ×4, first 2 shown]
	v_pk_mul_f32 v[28:29], v[32:33], v[28:29]
	s_nop 0
	v_pk_fma_f32 v[32:33], v[12:13], v[14:15], v[28:29] neg_lo:[1,0,0] neg_hi:[1,0,0]
	v_pk_fma_f32 v[14:15], v[12:13], v[14:15], v[28:29]
	v_pk_fma_f32 v[28:29], v[16:17], v[26:27], v[32:33] op_sel_hi:[0,1,1] neg_lo:[1,0,0] neg_hi:[1,0,0]
	v_pk_fma_f32 v[32:33], v[16:17], v[26:27], v[14:15] op_sel_hi:[0,1,1]
	v_pk_fma_f32 v[14:15], v[16:17], v[26:27], v[14:15] op_sel_hi:[0,1,1] neg_lo:[1,0,0] neg_hi:[1,0,0]
	v_mov_b32_e32 v33, v15
	ds_write_b64 v1, v[32:33]
	ds_write_b64 v0, v[28:29] offset:16896
	ds_read_b64 v[14:15], v20
	ds_read_b64 v[16:17], v0 offset:15360
	v_mov_b32_e32 v26, v13
	s_waitcnt vmcnt(1)
	v_mov_b32_e32 v27, v11
	v_mov_b32_e32 v12, v11
	s_waitcnt lgkmcnt(0)
	v_pk_add_f32 v[28:29], v[14:15], v[16:17]
	v_pk_add_f32 v[14:15], v[14:15], v[16:17] neg_lo:[0,1] neg_hi:[0,1]
	v_mov_b32_e32 v16, v29
	v_mov_b32_e32 v17, v14
	v_pk_mul_f32 v[16:17], v[16:17], 0.5 op_sel_hi:[1,0]
	s_nop 0
	v_mov_b32_e32 v29, v16
	v_mov_b32_e32 v14, v17
	v_pk_mul_f32 v[26:27], v[28:29], v[26:27]
	s_nop 0
	v_pk_fma_f32 v[28:29], v[12:13], v[14:15], v[26:27] neg_lo:[1,0,0] neg_hi:[1,0,0]
	v_pk_fma_f32 v[14:15], v[12:13], v[14:15], v[26:27]
	v_pk_fma_f32 v[26:27], v[10:11], v[16:17], v[28:29] op_sel_hi:[0,1,1] neg_lo:[1,0,0] neg_hi:[1,0,0]
	v_pk_fma_f32 v[28:29], v[10:11], v[16:17], v[14:15] op_sel_hi:[0,1,1]
	v_pk_fma_f32 v[10:11], v[10:11], v[16:17], v[14:15] op_sel_hi:[0,1,1] neg_lo:[1,0,0] neg_hi:[1,0,0]
	v_mov_b32_e32 v29, v11
	ds_write_b64 v20, v[28:29]
	ds_write_b64 v0, v[26:27] offset:15360
	ds_read_b64 v[10:11], v18 offset:4608
	ds_read_b64 v[14:15], v0 offset:13824
	v_mov_b32_e32 v16, v13
	v_mov_b32_e32 v17, v23
	;; [unrolled: 1-line block ×3, first 2 shown]
	s_waitcnt lgkmcnt(0)
	v_pk_add_f32 v[20:21], v[10:11], v[14:15]
	v_pk_add_f32 v[10:11], v[10:11], v[14:15] neg_lo:[0,1] neg_hi:[0,1]
	v_mov_b32_e32 v14, v21
	v_mov_b32_e32 v15, v10
	v_pk_mul_f32 v[14:15], v[14:15], 0.5 op_sel_hi:[1,0]
	s_nop 0
	v_mov_b32_e32 v21, v14
	v_mov_b32_e32 v10, v15
	v_pk_mul_f32 v[16:17], v[20:21], v[16:17]
	s_nop 0
	v_pk_fma_f32 v[20:21], v[12:13], v[10:11], v[16:17] neg_lo:[1,0,0] neg_hi:[1,0,0]
	v_pk_fma_f32 v[10:11], v[12:13], v[10:11], v[16:17]
	v_pk_fma_f32 v[16:17], v[22:23], v[14:15], v[20:21] op_sel_hi:[0,1,1] neg_lo:[1,0,0] neg_hi:[1,0,0]
	v_pk_fma_f32 v[20:21], v[22:23], v[14:15], v[10:11] op_sel_hi:[0,1,1]
	v_pk_fma_f32 v[10:11], v[22:23], v[14:15], v[10:11] op_sel_hi:[0,1,1] neg_lo:[1,0,0] neg_hi:[1,0,0]
	v_mov_b32_e32 v21, v11
	ds_write_b64 v18, v[20:21] offset:4608
	ds_write_b64 v0, v[16:17] offset:13824
	ds_read_b64 v[10:11], v18 offset:6144
	ds_read_b64 v[14:15], v0 offset:12288
	v_mov_b32_e32 v16, v13
	v_mov_b32_e32 v17, v25
	;; [unrolled: 1-line block ×3, first 2 shown]
	s_waitcnt lgkmcnt(0)
	v_pk_add_f32 v[20:21], v[10:11], v[14:15]
	v_pk_add_f32 v[10:11], v[10:11], v[14:15] neg_lo:[0,1] neg_hi:[0,1]
	v_mov_b32_e32 v14, v21
	v_mov_b32_e32 v15, v10
	v_pk_mul_f32 v[14:15], v[14:15], 0.5 op_sel_hi:[1,0]
	s_nop 0
	v_mov_b32_e32 v21, v14
	v_mov_b32_e32 v10, v15
	v_pk_mul_f32 v[16:17], v[20:21], v[16:17]
	s_nop 0
	v_pk_fma_f32 v[20:21], v[12:13], v[10:11], v[16:17] neg_lo:[1,0,0] neg_hi:[1,0,0]
	v_pk_fma_f32 v[10:11], v[12:13], v[10:11], v[16:17]
	v_pk_fma_f32 v[16:17], v[24:25], v[14:15], v[20:21] op_sel_hi:[0,1,1] neg_lo:[1,0,0] neg_hi:[1,0,0]
	v_pk_fma_f32 v[20:21], v[24:25], v[14:15], v[10:11] op_sel_hi:[0,1,1]
	v_pk_fma_f32 v[10:11], v[24:25], v[14:15], v[10:11] op_sel_hi:[0,1,1] neg_lo:[1,0,0] neg_hi:[1,0,0]
	v_mov_b32_e32 v21, v11
	ds_write_b64 v18, v[20:21] offset:6144
	ds_write_b64 v0, v[16:17] offset:12288
	ds_read_b64 v[10:11], v18 offset:7680
	ds_read_b64 v[14:15], v0 offset:10752
	v_mov_b32_e32 v16, v13
	s_waitcnt vmcnt(0)
	v_mov_b32_e32 v17, v31
	v_mov_b32_e32 v12, v31
	s_waitcnt lgkmcnt(0)
	v_pk_add_f32 v[20:21], v[10:11], v[14:15]
	v_pk_add_f32 v[10:11], v[10:11], v[14:15] neg_lo:[0,1] neg_hi:[0,1]
	v_mov_b32_e32 v14, v21
	v_mov_b32_e32 v15, v10
	v_pk_mul_f32 v[14:15], v[14:15], 0.5 op_sel_hi:[1,0]
	s_nop 0
	v_mov_b32_e32 v21, v14
	v_mov_b32_e32 v10, v15
	v_pk_mul_f32 v[16:17], v[20:21], v[16:17]
	s_nop 0
	v_pk_fma_f32 v[20:21], v[12:13], v[10:11], v[16:17] neg_lo:[1,0,0] neg_hi:[1,0,0]
	v_pk_fma_f32 v[10:11], v[12:13], v[10:11], v[16:17]
	v_pk_fma_f32 v[12:13], v[30:31], v[14:15], v[20:21] op_sel_hi:[0,1,1] neg_lo:[1,0,0] neg_hi:[1,0,0]
	v_pk_fma_f32 v[16:17], v[30:31], v[14:15], v[10:11] op_sel_hi:[0,1,1]
	v_pk_fma_f32 v[10:11], v[30:31], v[14:15], v[10:11] op_sel_hi:[0,1,1] neg_lo:[1,0,0] neg_hi:[1,0,0]
	v_mov_b32_e32 v17, v11
	ds_write_b64 v18, v[16:17] offset:7680
	ds_write_b64 v0, v[12:13] offset:10752
	s_waitcnt lgkmcnt(0)
	s_barrier
	s_and_saveexec_b64 s[4:5], s[0:1]
	s_cbranch_execz .LBB0_20
; %bb.18:
	v_lshl_add_u32 v14, v6, 3, 0
	v_mul_lo_u32 v7, s3, v4
	v_mul_lo_u32 v5, s2, v5
	v_mad_u64_u32 v[0:1], s[0:1], s2, v4, 0
	ds_read2st64_b64 v[10:13], v14 offset1:3
	v_add3_u32 v1, v1, v5, v7
	v_lshl_add_u64 v[0:1], v[0:1], 3, s[6:7]
	v_mov_b32_e32 v7, v9
	v_lshl_add_u64 v[0:1], v[2:3], 3, v[0:1]
	v_lshl_add_u64 v[2:3], v[6:7], 3, v[0:1]
	s_waitcnt lgkmcnt(0)
	global_store_dwordx2 v[2:3], v[10:11], off
	ds_read2st64_b64 v[2:5], v14 offset0:6 offset1:9
	v_add_u32_e32 v8, 0xc0, v6
	v_lshl_add_u64 v[10:11], v[8:9], 3, v[0:1]
	v_add_u32_e32 v8, 0x180, v6
	global_store_dwordx2 v[10:11], v[12:13], off
	v_lshl_add_u64 v[10:11], v[8:9], 3, v[0:1]
	s_waitcnt lgkmcnt(0)
	global_store_dwordx2 v[10:11], v[2:3], off
	ds_read2st64_b64 v[10:13], v14 offset0:12 offset1:15
	v_add_u32_e32 v8, 0x240, v6
	v_lshl_add_u64 v[2:3], v[8:9], 3, v[0:1]
	v_add_u32_e32 v8, 0x300, v6
	global_store_dwordx2 v[2:3], v[4:5], off
	;; [unrolled: 8-line block ×5, first 2 shown]
	v_lshl_add_u64 v[10:11], v[8:9], 3, v[0:1]
	v_add_u32_e32 v8, 0x840, v6
	s_movk_i32 s0, 0xbf
	s_waitcnt lgkmcnt(0)
	global_store_dwordx2 v[10:11], v[2:3], off
	v_lshl_add_u64 v[2:3], v[8:9], 3, v[0:1]
	v_cmp_eq_u32_e32 vcc, s0, v6
	global_store_dwordx2 v[2:3], v[4:5], off
	s_and_b64 exec, exec, vcc
	s_cbranch_execz .LBB0_20
; %bb.19:
	v_mov_b32_e32 v2, 0
	ds_read_b64 v[2:3], v2 offset:18432
	v_add_co_u32_e32 v0, vcc, 0x4000, v0
	s_nop 1
	v_addc_co_u32_e32 v1, vcc, 0, v1, vcc
	s_waitcnt lgkmcnt(0)
	global_store_dwordx2 v[0:1], v[2:3], off offset:2048
.LBB0_20:
	s_endpgm
	.section	.rodata,"a",@progbits
	.p2align	6, 0x0
	.amdhsa_kernel fft_rtc_fwd_len2304_factors_6_6_4_4_4_wgs_192_tpt_192_halfLds_sp_op_CI_CI_unitstride_sbrr_R2C_dirReg
		.amdhsa_group_segment_fixed_size 0
		.amdhsa_private_segment_fixed_size 0
		.amdhsa_kernarg_size 104
		.amdhsa_user_sgpr_count 2
		.amdhsa_user_sgpr_dispatch_ptr 0
		.amdhsa_user_sgpr_queue_ptr 0
		.amdhsa_user_sgpr_kernarg_segment_ptr 1
		.amdhsa_user_sgpr_dispatch_id 0
		.amdhsa_user_sgpr_kernarg_preload_length 0
		.amdhsa_user_sgpr_kernarg_preload_offset 0
		.amdhsa_user_sgpr_private_segment_size 0
		.amdhsa_uses_dynamic_stack 0
		.amdhsa_enable_private_segment 0
		.amdhsa_system_sgpr_workgroup_id_x 1
		.amdhsa_system_sgpr_workgroup_id_y 0
		.amdhsa_system_sgpr_workgroup_id_z 0
		.amdhsa_system_sgpr_workgroup_info 0
		.amdhsa_system_vgpr_workitem_id 0
		.amdhsa_next_free_vgpr 60
		.amdhsa_next_free_sgpr 28
		.amdhsa_accum_offset 60
		.amdhsa_reserve_vcc 1
		.amdhsa_float_round_mode_32 0
		.amdhsa_float_round_mode_16_64 0
		.amdhsa_float_denorm_mode_32 3
		.amdhsa_float_denorm_mode_16_64 3
		.amdhsa_dx10_clamp 1
		.amdhsa_ieee_mode 1
		.amdhsa_fp16_overflow 0
		.amdhsa_tg_split 0
		.amdhsa_exception_fp_ieee_invalid_op 0
		.amdhsa_exception_fp_denorm_src 0
		.amdhsa_exception_fp_ieee_div_zero 0
		.amdhsa_exception_fp_ieee_overflow 0
		.amdhsa_exception_fp_ieee_underflow 0
		.amdhsa_exception_fp_ieee_inexact 0
		.amdhsa_exception_int_div_zero 0
	.end_amdhsa_kernel
	.text
.Lfunc_end0:
	.size	fft_rtc_fwd_len2304_factors_6_6_4_4_4_wgs_192_tpt_192_halfLds_sp_op_CI_CI_unitstride_sbrr_R2C_dirReg, .Lfunc_end0-fft_rtc_fwd_len2304_factors_6_6_4_4_4_wgs_192_tpt_192_halfLds_sp_op_CI_CI_unitstride_sbrr_R2C_dirReg
                                        ; -- End function
	.section	.AMDGPU.csdata,"",@progbits
; Kernel info:
; codeLenInByte = 7664
; NumSgprs: 34
; NumVgprs: 60
; NumAgprs: 0
; TotalNumVgprs: 60
; ScratchSize: 0
; MemoryBound: 0
; FloatMode: 240
; IeeeMode: 1
; LDSByteSize: 0 bytes/workgroup (compile time only)
; SGPRBlocks: 4
; VGPRBlocks: 7
; NumSGPRsForWavesPerEU: 34
; NumVGPRsForWavesPerEU: 60
; AccumOffset: 60
; Occupancy: 8
; WaveLimiterHint : 1
; COMPUTE_PGM_RSRC2:SCRATCH_EN: 0
; COMPUTE_PGM_RSRC2:USER_SGPR: 2
; COMPUTE_PGM_RSRC2:TRAP_HANDLER: 0
; COMPUTE_PGM_RSRC2:TGID_X_EN: 1
; COMPUTE_PGM_RSRC2:TGID_Y_EN: 0
; COMPUTE_PGM_RSRC2:TGID_Z_EN: 0
; COMPUTE_PGM_RSRC2:TIDIG_COMP_CNT: 0
; COMPUTE_PGM_RSRC3_GFX90A:ACCUM_OFFSET: 14
; COMPUTE_PGM_RSRC3_GFX90A:TG_SPLIT: 0
	.text
	.p2alignl 6, 3212836864
	.fill 256, 4, 3212836864
	.type	__hip_cuid_758c3c3998e5ca9f,@object ; @__hip_cuid_758c3c3998e5ca9f
	.section	.bss,"aw",@nobits
	.globl	__hip_cuid_758c3c3998e5ca9f
__hip_cuid_758c3c3998e5ca9f:
	.byte	0                               ; 0x0
	.size	__hip_cuid_758c3c3998e5ca9f, 1

	.ident	"AMD clang version 19.0.0git (https://github.com/RadeonOpenCompute/llvm-project roc-6.4.0 25133 c7fe45cf4b819c5991fe208aaa96edf142730f1d)"
	.section	".note.GNU-stack","",@progbits
	.addrsig
	.addrsig_sym __hip_cuid_758c3c3998e5ca9f
	.amdgpu_metadata
---
amdhsa.kernels:
  - .agpr_count:     0
    .args:
      - .actual_access:  read_only
        .address_space:  global
        .offset:         0
        .size:           8
        .value_kind:     global_buffer
      - .offset:         8
        .size:           8
        .value_kind:     by_value
      - .actual_access:  read_only
        .address_space:  global
        .offset:         16
        .size:           8
        .value_kind:     global_buffer
      - .actual_access:  read_only
        .address_space:  global
        .offset:         24
        .size:           8
        .value_kind:     global_buffer
      - .actual_access:  read_only
        .address_space:  global
        .offset:         32
        .size:           8
        .value_kind:     global_buffer
      - .offset:         40
        .size:           8
        .value_kind:     by_value
      - .actual_access:  read_only
        .address_space:  global
        .offset:         48
        .size:           8
        .value_kind:     global_buffer
      - .actual_access:  read_only
        .address_space:  global
        .offset:         56
        .size:           8
        .value_kind:     global_buffer
      - .offset:         64
        .size:           4
        .value_kind:     by_value
      - .actual_access:  read_only
        .address_space:  global
        .offset:         72
        .size:           8
        .value_kind:     global_buffer
      - .actual_access:  read_only
        .address_space:  global
        .offset:         80
        .size:           8
        .value_kind:     global_buffer
      - .actual_access:  read_only
        .address_space:  global
        .offset:         88
        .size:           8
        .value_kind:     global_buffer
      - .actual_access:  write_only
        .address_space:  global
        .offset:         96
        .size:           8
        .value_kind:     global_buffer
    .group_segment_fixed_size: 0
    .kernarg_segment_align: 8
    .kernarg_segment_size: 104
    .language:       OpenCL C
    .language_version:
      - 2
      - 0
    .max_flat_workgroup_size: 192
    .name:           fft_rtc_fwd_len2304_factors_6_6_4_4_4_wgs_192_tpt_192_halfLds_sp_op_CI_CI_unitstride_sbrr_R2C_dirReg
    .private_segment_fixed_size: 0
    .sgpr_count:     34
    .sgpr_spill_count: 0
    .symbol:         fft_rtc_fwd_len2304_factors_6_6_4_4_4_wgs_192_tpt_192_halfLds_sp_op_CI_CI_unitstride_sbrr_R2C_dirReg.kd
    .uniform_work_group_size: 1
    .uses_dynamic_stack: false
    .vgpr_count:     60
    .vgpr_spill_count: 0
    .wavefront_size: 64
amdhsa.target:   amdgcn-amd-amdhsa--gfx950
amdhsa.version:
  - 1
  - 2
...

	.end_amdgpu_metadata
